;; amdgpu-corpus repo=ROCm/rocFFT kind=compiled arch=gfx1030 opt=O3
	.text
	.amdgcn_target "amdgcn-amd-amdhsa--gfx1030"
	.amdhsa_code_object_version 6
	.protected	bluestein_single_fwd_len441_dim1_half_op_CI_CI ; -- Begin function bluestein_single_fwd_len441_dim1_half_op_CI_CI
	.globl	bluestein_single_fwd_len441_dim1_half_op_CI_CI
	.p2align	8
	.type	bluestein_single_fwd_len441_dim1_half_op_CI_CI,@function
bluestein_single_fwd_len441_dim1_half_op_CI_CI: ; @bluestein_single_fwd_len441_dim1_half_op_CI_CI
; %bb.0:
	s_load_dwordx4 s[0:3], s[4:5], 0x28
	v_mul_u32_u24_e32 v1, 0x411, v0
	v_mov_b32_e32 v9, 0
	v_lshrrev_b32_e32 v1, 16, v1
	v_add_nc_u32_e32 v8, s6, v1
	s_waitcnt lgkmcnt(0)
	v_cmp_gt_u64_e32 vcc_lo, s[0:1], v[8:9]
	s_and_saveexec_b32 s0, vcc_lo
	s_cbranch_execz .LBB0_15
; %bb.1:
	s_clause 0x1
	s_load_dwordx2 s[8:9], s[4:5], 0x0
	s_load_dwordx2 s[6:7], s[4:5], 0x38
	v_mul_lo_u16 v1, v1, 63
	v_sub_nc_u16 v0, v0, v1
	v_and_b32_e32 v22, 0xffff, v0
	v_cmp_gt_u16_e32 vcc_lo, 49, v0
	v_lshlrev_b32_e32 v21, 2, v22
	s_and_saveexec_b32 s1, vcc_lo
	s_cbranch_execz .LBB0_3
; %bb.2:
	s_load_dwordx2 s[10:11], s[4:5], 0x18
	s_waitcnt lgkmcnt(0)
	s_load_dwordx4 s[12:15], s[10:11], 0x0
	s_waitcnt lgkmcnt(0)
	v_mad_u64_u32 v[0:1], null, s14, v8, 0
	v_mad_u64_u32 v[2:3], null, s12, v22, 0
	s_mul_i32 s10, s13, 0xc4
	s_mul_hi_u32 s11, s12, 0xc4
	s_add_i32 s11, s11, s10
	v_mad_u64_u32 v[4:5], null, s15, v8, v[1:2]
	v_mad_u64_u32 v[5:6], null, s13, v22, v[3:4]
	v_mov_b32_e32 v1, v4
	v_lshlrev_b64 v[0:1], 2, v[0:1]
	v_mov_b32_e32 v3, v5
	v_add_co_u32 v0, s0, s2, v0
	v_lshlrev_b64 v[2:3], 2, v[2:3]
	v_add_co_ci_u32_e64 v1, s0, s3, v1, s0
	s_mul_i32 s2, s12, 0xc4
	v_add_co_u32 v0, s0, v0, v2
	v_add_co_ci_u32_e64 v1, s0, v1, v3, s0
	v_add_co_u32 v2, s0, v0, s2
	v_add_co_ci_u32_e64 v3, s0, s11, v1, s0
	global_load_dword v4, v[0:1], off
	v_add_co_u32 v0, s0, v2, s2
	v_add_co_ci_u32_e64 v1, s0, s11, v3, s0
	s_clause 0x1
	global_load_dword v5, v21, s[8:9]
	global_load_dword v6, v21, s[8:9] offset:196
	s_clause 0x1
	global_load_dword v7, v[2:3], off
	global_load_dword v9, v[0:1], off
	v_add_co_u32 v0, s0, v0, s2
	v_add_co_ci_u32_e64 v1, s0, s11, v1, s0
	s_clause 0x3
	global_load_dword v10, v21, s[8:9] offset:392
	global_load_dword v11, v21, s[8:9] offset:588
	;; [unrolled: 1-line block ×4, first 2 shown]
	v_add_co_u32 v2, s0, v0, s2
	v_add_co_ci_u32_e64 v3, s0, s11, v1, s0
	s_clause 0x1
	global_load_dword v14, v[0:1], off
	global_load_dword v15, v[2:3], off
	v_add_co_u32 v0, s0, v2, s2
	v_add_co_ci_u32_e64 v1, s0, s11, v3, s0
	v_add_co_u32 v2, s0, v0, s2
	v_add_co_ci_u32_e64 v3, s0, s11, v1, s0
	global_load_dword v16, v[0:1], off
	v_add_co_u32 v0, s0, v2, s2
	v_add_co_ci_u32_e64 v1, s0, s11, v3, s0
	global_load_dword v17, v[2:3], off
	v_add_co_u32 v2, s0, v0, s2
	v_add_co_ci_u32_e64 v3, s0, s11, v1, s0
	global_load_dword v18, v21, s[8:9] offset:1176
	global_load_dword v0, v[0:1], off
	global_load_dword v1, v[2:3], off
	s_clause 0x1
	global_load_dword v2, v21, s[8:9] offset:1372
	global_load_dword v3, v21, s[8:9] offset:1568
	s_waitcnt vmcnt(17)
	v_lshrrev_b32_e32 v19, 16, v4
	s_waitcnt vmcnt(16)
	v_mul_f16_sdwa v20, v5, v4 dst_sel:DWORD dst_unused:UNUSED_PAD src0_sel:WORD_1 src1_sel:DWORD
	s_waitcnt vmcnt(14)
	v_lshrrev_b32_e32 v24, 16, v7
	v_mul_f16_sdwa v23, v5, v19 dst_sel:DWORD dst_unused:UNUSED_PAD src0_sel:WORD_1 src1_sel:DWORD
	v_mul_f16_sdwa v25, v6, v7 dst_sel:DWORD dst_unused:UNUSED_PAD src0_sel:WORD_1 src1_sel:DWORD
	v_fma_f16 v19, v5, v19, -v20
	v_fmac_f16_e32 v23, v5, v4
	v_mul_f16_sdwa v4, v6, v24 dst_sel:DWORD dst_unused:UNUSED_PAD src0_sel:WORD_1 src1_sel:DWORD
	s_waitcnt vmcnt(13)
	v_lshrrev_b32_e32 v5, 16, v9
	v_fma_f16 v20, v6, v24, -v25
	s_waitcnt vmcnt(12)
	v_mul_f16_sdwa v24, v10, v9 dst_sel:DWORD dst_unused:UNUSED_PAD src0_sel:WORD_1 src1_sel:DWORD
	v_pack_b32_f16 v19, v23, v19
	v_fmac_f16_e32 v4, v6, v7
	v_mul_f16_sdwa v6, v10, v5 dst_sel:DWORD dst_unused:UNUSED_PAD src0_sel:WORD_1 src1_sel:DWORD
	s_waitcnt vmcnt(8)
	v_lshrrev_b32_e32 v7, 16, v14
	v_fma_f16 v5, v10, v5, -v24
	v_mul_f16_sdwa v23, v11, v14 dst_sel:DWORD dst_unused:UNUSED_PAD src0_sel:WORD_1 src1_sel:DWORD
	v_pack_b32_f16 v4, v4, v20
	v_fmac_f16_e32 v6, v10, v9
	s_waitcnt vmcnt(7)
	v_lshrrev_b32_e32 v10, 16, v15
	v_mul_f16_sdwa v9, v11, v7 dst_sel:DWORD dst_unused:UNUSED_PAD src0_sel:WORD_1 src1_sel:DWORD
	v_mul_f16_sdwa v20, v12, v15 dst_sel:DWORD dst_unused:UNUSED_PAD src0_sel:WORD_1 src1_sel:DWORD
	v_fma_f16 v7, v11, v7, -v23
	v_pack_b32_f16 v5, v6, v5
	v_mul_f16_sdwa v6, v12, v10 dst_sel:DWORD dst_unused:UNUSED_PAD src0_sel:WORD_1 src1_sel:DWORD
	v_fmac_f16_e32 v9, v11, v14
	s_waitcnt vmcnt(6)
	v_lshrrev_b32_e32 v11, 16, v16
	v_mul_f16_sdwa v14, v13, v16 dst_sel:DWORD dst_unused:UNUSED_PAD src0_sel:WORD_1 src1_sel:DWORD
	v_fma_f16 v10, v12, v10, -v20
	v_fmac_f16_e32 v6, v12, v15
	v_pack_b32_f16 v7, v9, v7
	v_mul_f16_sdwa v9, v13, v11 dst_sel:DWORD dst_unused:UNUSED_PAD src0_sel:WORD_1 src1_sel:DWORD
	v_fma_f16 v11, v13, v11, -v14
	s_waitcnt vmcnt(5)
	v_lshrrev_b32_e32 v12, 16, v17
	s_waitcnt vmcnt(4)
	v_mul_f16_sdwa v14, v18, v17 dst_sel:DWORD dst_unused:UNUSED_PAD src0_sel:WORD_1 src1_sel:DWORD
	v_pack_b32_f16 v6, v6, v10
	s_waitcnt vmcnt(3)
	v_lshrrev_b32_e32 v10, 16, v0
	v_fmac_f16_e32 v9, v13, v16
	s_waitcnt vmcnt(2)
	v_lshrrev_b32_e32 v13, 16, v1
	v_mul_f16_sdwa v15, v18, v12 dst_sel:DWORD dst_unused:UNUSED_PAD src0_sel:WORD_1 src1_sel:DWORD
	v_fma_f16 v12, v18, v12, -v14
	s_waitcnt vmcnt(1)
	v_mul_f16_sdwa v14, v2, v0 dst_sel:DWORD dst_unused:UNUSED_PAD src0_sel:WORD_1 src1_sel:DWORD
	v_mul_f16_sdwa v16, v2, v10 dst_sel:DWORD dst_unused:UNUSED_PAD src0_sel:WORD_1 src1_sel:DWORD
	s_waitcnt vmcnt(0)
	v_mul_f16_sdwa v20, v3, v13 dst_sel:DWORD dst_unused:UNUSED_PAD src0_sel:WORD_1 src1_sel:DWORD
	v_mul_f16_sdwa v23, v3, v1 dst_sel:DWORD dst_unused:UNUSED_PAD src0_sel:WORD_1 src1_sel:DWORD
	v_fmac_f16_e32 v15, v18, v17
	v_fma_f16 v10, v2, v10, -v14
	v_fmac_f16_e32 v16, v2, v0
	v_fmac_f16_e32 v20, v3, v1
	v_fma_f16 v0, v3, v13, -v23
	v_pack_b32_f16 v1, v9, v11
	v_pack_b32_f16 v2, v15, v12
	;; [unrolled: 1-line block ×3, first 2 shown]
	v_add_nc_u32_e32 v9, 0x400, v21
	v_pack_b32_f16 v0, v20, v0
	ds_write2_b32 v21, v19, v4 offset1:49
	ds_write2_b32 v21, v5, v7 offset0:98 offset1:147
	ds_write2_b32 v21, v6, v1 offset0:196 offset1:245
	;; [unrolled: 1-line block ×3, first 2 shown]
	ds_write_b32 v21, v0 offset:1568
.LBB0_3:
	s_or_b32 exec_lo, exec_lo, s1
	s_clause 0x1
	s_load_dwordx2 s[0:1], s[4:5], 0x20
	s_load_dwordx2 s[4:5], s[4:5], 0x8
	v_mov_b32_e32 v1, 0
	v_mov_b32_e32 v4, 0
	;; [unrolled: 1-line block ×4, first 2 shown]
	s_waitcnt lgkmcnt(0)
	s_barrier
	buffer_gl0_inv
                                        ; implicit-def: $vgpr7
                                        ; implicit-def: $vgpr9
	s_and_saveexec_b32 s2, vcc_lo
	s_cbranch_execz .LBB0_5
; %bb.4:
	v_add_nc_u32_e32 v4, 0x400, v21
	ds_read2_b32 v[0:1], v21 offset1:49
	ds_read2_b32 v[2:3], v21 offset0:196 offset1:245
	ds_read_b32 v9, v21 offset:1568
	ds_read2_b32 v[6:7], v4 offset0:38 offset1:87
	ds_read2_b32 v[4:5], v21 offset0:98 offset1:147
.LBB0_5:
	s_or_b32 exec_lo, exec_lo, s2
	s_waitcnt lgkmcnt(0)
	v_alignbit_b32 v10, v4, v1, 16
	v_alignbit_b32 v11, v7, v9, 16
	;; [unrolled: 1-line block ×4, first 2 shown]
	v_pk_add_f16 v9, v9, v1
	v_pk_add_f16 v7, v7, v4
	v_pk_add_f16 v10, v10, v11 neg_lo:[0,1] neg_hi:[0,1]
	v_pk_add_f16 v4, v2, v3 neg_lo:[0,1] neg_hi:[0,1]
	;; [unrolled: 1-line block ×3, first 2 shown]
	v_pk_add_f16 v11, v3, v2
	v_pk_add_f16 v14, v5, v6 neg_lo:[0,1] neg_hi:[0,1]
	v_pk_mul_f16 v12, 0x3be13924, v10
	v_pk_fma_f16 v15, 0x3a21, v9, v0 op_sel_hi:[0,1,1]
	v_pk_mul_f16 v16, 0x3924, v4 op_sel_hi:[0,1]
	v_bfi_b32 v17, 0xffff, v10, v1
	v_pk_fma_f16 v18, 0x3a21, v11, v0 op_sel_hi:[0,1,1]
	v_pk_mul_f16 v14, 0x3aee, v14 op_sel_hi:[0,1]
	v_pk_fma_f16 v12, 0x39243be1, v1, v12
	v_pk_add_f16 v13, v6, v5
	v_pk_fma_f16 v5, 0x318f, v7, v15 op_sel_hi:[0,1,1]
	v_pk_fma_f16 v6, 0x3be1, v17, v16 op_sel:[0,0,1] op_sel_hi:[0,1,0] neg_lo:[0,0,1] neg_hi:[0,0,1]
	v_pk_fma_f16 v15, 0x318f, v9, v18 op_sel_hi:[0,1,1]
	v_pk_add_f16 v12, v12, v14 op_sel:[0,1] op_sel_hi:[1,0]
	v_pk_mul_f16 v16, 0x3579, v4 op_sel_hi:[0,1]
	v_pk_fma_f16 v5, v13, 0.5, v5 op_sel_hi:[1,0,1] neg_lo:[1,0,0] neg_hi:[1,0,0]
	v_pk_add_f16 v6, v6, v14 op_sel:[0,1] op_sel_hi:[1,0] neg_lo:[0,1] neg_hi:[0,1]
	v_bfi_b32 v17, 0xffff, v1, v10
	v_pk_fma_f16 v15, v13, 0.5, v15 op_sel_hi:[1,0,1] neg_lo:[1,0,0] neg_hi:[1,0,0]
	v_pk_add_f16 v12, v12, v16 op_sel:[0,1] op_sel_hi:[1,0]
	v_pk_fma_f16 v5, 0x3b84, v11, v5 op_sel_hi:[0,1,1] neg_lo:[0,1,0] neg_hi:[0,1,0]
	v_mul_lo_u16 v23, v22, 9
	v_pk_fma_f16 v17, 0x3579, v17, v6 op_sel_hi:[0,1,1]
	v_pk_fma_f16 v6, 0x3b84, v7, v15 op_sel_hi:[0,1,1] neg_lo:[0,1,0] neg_hi:[0,1,0]
	v_lshrrev_b32_e32 v18, 16, v12
	v_pk_add_f16 v15, v5, v12 neg_lo:[0,1] neg_hi:[0,1]
	v_pk_add_f16 v16, v5, v12
	v_lshrrev_b32_e32 v19, 16, v17
	v_pk_add_f16 v5, v6, v17 neg_lo:[0,1] neg_hi:[0,1]
	v_pk_add_f16 v6, v6, v17
	v_lshrrev_b32_e32 v26, 16, v15
	v_fma_f16 v25, -2.0, v12, v16
	v_lshrrev_b32_e32 v27, 16, v5
	v_fma_f16 v12, -2.0, v17, v6
	v_fmac_f16_e32 v26, 2.0, v18
	s_barrier
	buffer_gl0_inv
	v_fmac_f16_e32 v27, 2.0, v19
	s_and_saveexec_b32 s2, vcc_lo
	s_cbranch_execz .LBB0_7
; %bb.6:
	v_mov_b32_e32 v17, 0x3be1
	v_fmamk_f16 v18, v7, 0x3a21, v0
	v_lshrrev_b32_e32 v20, 16, v7
	v_lshrrev_b32_e32 v24, 16, v0
	v_pk_mul_f16 v19, v13, 0.5 op_sel_hi:[1,0]
	v_mul_f16_sdwa v17, v4, v17 dst_sel:DWORD dst_unused:UNUSED_PAD src0_sel:WORD_1 src1_sel:DWORD
	v_fmac_f16_e32 v18, 0x318f, v11
	v_lshrrev_b32_e32 v28, 16, v10
	v_fmac_f16_e32 v24, 0x3a21, v20
	v_lshrrev_b32_e32 v20, 16, v11
	v_fma_f16 v17, v1, 0xb924, -v17
	v_mul_f16_e32 v29, 0x3be1, v4
	v_sub_f16_e32 v18, v18, v19
	v_pk_add_f16 v7, v9, v7
	v_fmac_f16_e32 v24, 0x318f, v20
	v_add_f16_sdwa v17, v14, v17 dst_sel:DWORD dst_unused:UNUSED_PAD src0_sel:WORD_1 src1_sel:DWORD
	v_fma_f16 v29, v28, 0xb924, -v29
	v_fmac_f16_e32 v18, 0xbb84, v9
	v_lshrrev_b32_e32 v20, 16, v1
	v_sub_f16_sdwa v19, v24, v19 dst_sel:DWORD dst_unused:UNUSED_PAD src0_sel:DWORD src1_sel:WORD_1
	v_lshrrev_b32_e32 v24, 16, v9
	v_fmac_f16_e32 v17, 0x3579, v10
	v_add_f16_sdwa v9, v10, v4 dst_sel:DWORD dst_unused:UNUSED_PAD src0_sel:DWORD src1_sel:WORD_1
	v_pk_add_f16 v10, v0, v13
	v_pk_add_f16 v11, v7, v11
	v_add_f16_e32 v14, v14, v29
	v_add_f16_e32 v4, v20, v4
	v_sub_f16_e32 v1, v9, v1
	v_pk_add_f16 v7, v7, v13
	v_lshrrev_b32_e32 v9, 16, v10
	v_lshrrev_b32_e32 v13, 16, v11
	v_fmac_f16_e32 v14, 0x3579, v20
	v_fmac_f16_e32 v19, 0xbb84, v24
	v_sub_f16_e32 v4, v4, v28
	v_pk_add_f16 v2, v7, v2
	v_fmac_f16_e32 v10, -0.5, v11
	v_fmac_f16_e32 v9, -0.5, v13
	v_bfi_b32 v15, 0xffff, v16, v15
	v_add_f16_e32 v16, v18, v17
	v_sub_f16_e32 v18, v19, v14
	v_mul_f16_e32 v19, 0x3aee, v1
	v_mul_f16_e32 v7, 0x3aee, v4
	v_pk_add_f16 v2, v3, v2
	v_fmac_f16_e32 v10, 0x3aee, v1
	v_fmamk_f16 v1, v4, 0xbaee, v9
	v_mov_b32_e32 v11, 2
	v_fma_f16 v17, -2.0, v17, v16
	v_fma_f16 v3, 2.0, v14, v18
	v_pk_add_f16 v0, v0, v2
	v_fma_f16 v2, -2.0, v19, v10
	v_fma_f16 v7, 2.0, v7, v1
	v_lshlrev_b32_sdwa v4, v11, v23 dst_sel:DWORD dst_unused:UNUSED_PAD src0_sel:DWORD src1_sel:WORD_0
	v_pack_b32_f16 v1, v10, v1
	v_bfi_b32 v5, 0xffff, v6, v5
	v_pack_b32_f16 v6, v16, v18
	v_pack_b32_f16 v3, v17, v3
	v_pack_b32_f16 v2, v2, v7
	v_perm_b32 v7, v27, v12, 0x5040100
	v_perm_b32 v9, v26, v25, 0x5040100
	ds_write2_b32 v4, v0, v15 offset1:1
	ds_write2_b32 v4, v5, v1 offset0:2 offset1:3
	ds_write2_b32 v4, v6, v3 offset0:4 offset1:5
	;; [unrolled: 1-line block ×3, first 2 shown]
	ds_write_b32 v4, v9 offset:32
.LBB0_7:
	s_or_b32 exec_lo, exec_lo, s2
	v_and_b32_e32 v0, 0xff, v22
	s_load_dwordx4 s[0:3], s[0:1], 0x0
	s_waitcnt lgkmcnt(0)
	s_barrier
	buffer_gl0_inv
	v_mul_lo_u16 v0, v0, 57
	v_add_nc_u32_e32 v35, 0x200, v21
	v_mov_b32_e32 v19, 63
	v_mad_u64_u32 v[15:16], null, v22, 24, s[4:5]
	v_lshrrev_b16 v11, 9, v0
	v_mul_lo_u16 v0, v11, 9
	v_mul_u32_u24_sdwa v11, v11, v19 dst_sel:DWORD dst_unused:UNUSED_PAD src0_sel:WORD_0 src1_sel:DWORD
	v_sub_nc_u16 v0, v22, v0
	v_and_b32_e32 v17, 0xff, v0
	v_mul_u32_u24_e32 v0, 6, v17
	v_add_lshl_u32 v24, v11, v17, 2
	v_lshlrev_b32_e32 v4, 2, v0
	s_clause 0x1
	global_load_dwordx4 v[0:3], v4, s[4:5]
	global_load_dwordx2 v[9:10], v4, s[4:5] offset:16
	ds_read2_b32 v[4:5], v21 offset1:63
	ds_read2_b32 v[6:7], v21 offset0:126 offset1:189
	ds_read_b32 v18, v21 offset:1512
	ds_read2_b32 v[13:14], v35 offset0:124 offset1:187
	s_waitcnt vmcnt(0) lgkmcnt(0)
	s_barrier
	buffer_gl0_inv
	v_lshrrev_b32_e32 v19, 16, v5
	v_lshrrev_b32_e32 v20, 16, v6
	;; [unrolled: 1-line block ×6, first 2 shown]
	v_mul_f16_sdwa v11, v19, v0 dst_sel:DWORD dst_unused:UNUSED_PAD src0_sel:DWORD src1_sel:WORD_1
	v_mul_f16_sdwa v17, v5, v0 dst_sel:DWORD dst_unused:UNUSED_PAD src0_sel:DWORD src1_sel:WORD_1
	;; [unrolled: 1-line block ×12, first 2 shown]
	v_fma_f16 v5, v5, v0, -v11
	v_fmac_f16_e32 v17, v19, v0
	v_fma_f16 v6, v6, v1, -v32
	v_fmac_f16_e32 v33, v20, v1
	v_fma_f16 v11, v13, v3, -v37
	v_fma_f16 v13, v18, v10, -v41
	v_fmac_f16_e32 v42, v29, v10
	v_fma_f16 v14, v14, v9, -v39
	v_fmac_f16_e32 v40, v31, v9
	;; [unrolled: 2-line block ×3, first 2 shown]
	v_fmac_f16_e32 v38, v30, v3
	v_add_f16_e32 v18, v5, v13
	v_add_f16_e32 v19, v17, v42
	v_sub_f16_e32 v5, v5, v13
	v_sub_f16_e32 v13, v17, v42
	v_add_f16_e32 v17, v6, v14
	v_add_f16_e32 v20, v33, v40
	v_sub_f16_e32 v6, v6, v14
	v_sub_f16_e32 v14, v33, v40
	;; [unrolled: 4-line block ×4, first 2 shown]
	v_sub_f16_e32 v18, v18, v28
	v_sub_f16_e32 v19, v19, v29
	;; [unrolled: 1-line block ×4, first 2 shown]
	v_add_f16_e32 v34, v7, v6
	v_add_f16_e32 v36, v11, v14
	v_sub_f16_e32 v37, v7, v6
	v_sub_f16_e32 v38, v11, v14
	;; [unrolled: 1-line block ×4, first 2 shown]
	v_add_f16_e32 v28, v28, v30
	v_add_f16_e32 v29, v29, v31
	v_sub_f16_e32 v7, v5, v7
	v_sub_f16_e32 v11, v13, v11
	v_add_f16_e32 v5, v34, v5
	v_add_f16_e32 v13, v36, v13
	v_mul_f16_e32 v18, 0x3a52, v18
	v_mul_f16_e32 v19, 0x3a52, v19
	;; [unrolled: 1-line block ×8, first 2 shown]
	v_add_f16_e32 v39, v4, v28
	v_add_f16_sdwa v4, v4, v29 dst_sel:DWORD dst_unused:UNUSED_PAD src0_sel:WORD_1 src1_sel:DWORD
	v_fmamk_f16 v17, v17, 0x2b26, v18
	v_fmamk_f16 v20, v20, 0x2b26, v19
	v_fma_f16 v30, v32, 0x39e0, -v30
	v_fma_f16 v31, v33, 0x39e0, -v31
	;; [unrolled: 1-line block ×4, first 2 shown]
	v_fmamk_f16 v32, v7, 0x3574, v34
	v_fmamk_f16 v33, v11, 0x3574, v36
	v_fma_f16 v6, v6, 0x3b00, -v34
	v_fma_f16 v14, v14, 0x3b00, -v36
	;; [unrolled: 1-line block ×4, first 2 shown]
	v_fmamk_f16 v28, v28, 0xbcab, v39
	v_fmamk_f16 v29, v29, 0xbcab, v4
	v_fmac_f16_e32 v32, 0x370e, v5
	v_fmac_f16_e32 v33, 0x370e, v13
	;; [unrolled: 1-line block ×6, first 2 shown]
	v_add_f16_e32 v5, v17, v28
	v_add_f16_e32 v13, v20, v29
	;; [unrolled: 1-line block ×7, first 2 shown]
	v_sub_f16_e32 v29, v13, v32
	v_add_f16_e32 v30, v11, v18
	v_sub_f16_e32 v31, v19, v7
	v_sub_f16_e32 v34, v17, v14
	v_add_f16_e32 v36, v6, v20
	v_add_f16_e32 v14, v14, v17
	v_sub_f16_e32 v6, v20, v6
	v_sub_f16_e32 v11, v18, v11
	v_add_f16_e32 v7, v7, v19
	v_sub_f16_e32 v5, v5, v33
	v_add_f16_e32 v13, v32, v13
	v_pack_b32_f16 v4, v39, v4
	v_pack_b32_f16 v17, v28, v29
	;; [unrolled: 1-line block ×7, first 2 shown]
	ds_write2_b32 v24, v4, v17 offset1:9
	ds_write2_b32 v24, v18, v19 offset0:18 offset1:27
	ds_write2_b32 v24, v6, v7 offset0:36 offset1:45
	ds_write_b32 v24, v5 offset:216
	s_waitcnt lgkmcnt(0)
	s_barrier
	buffer_gl0_inv
	s_clause 0x1
	global_load_dwordx4 v[4:7], v[15:16], off offset:216
	global_load_dwordx2 v[13:14], v[15:16], off offset:232
	ds_read2_b32 v[16:17], v21 offset1:63
	ds_read2_b32 v[18:19], v21 offset0:126 offset1:189
	ds_read2_b32 v[28:29], v35 offset0:124 offset1:187
	ds_read_b32 v11, v21 offset:1512
	s_waitcnt lgkmcnt(3)
	v_lshrrev_b32_e32 v15, 16, v17
	s_waitcnt lgkmcnt(2)
	v_lshrrev_b32_e32 v20, 16, v18
	;; [unrolled: 2-line block ×4, first 2 shown]
	v_lshrrev_b32_e32 v30, 16, v19
	v_lshrrev_b32_e32 v31, 16, v28
	s_waitcnt vmcnt(1)
	v_mul_f16_sdwa v34, v15, v4 dst_sel:DWORD dst_unused:UNUSED_PAD src0_sel:DWORD src1_sel:WORD_1
	v_mul_f16_sdwa v36, v17, v4 dst_sel:DWORD dst_unused:UNUSED_PAD src0_sel:DWORD src1_sel:WORD_1
	v_mul_f16_sdwa v37, v20, v5 dst_sel:DWORD dst_unused:UNUSED_PAD src0_sel:DWORD src1_sel:WORD_1
	v_mul_f16_sdwa v38, v18, v5 dst_sel:DWORD dst_unused:UNUSED_PAD src0_sel:DWORD src1_sel:WORD_1
	s_waitcnt vmcnt(0)
	v_mul_f16_sdwa v43, v32, v13 dst_sel:DWORD dst_unused:UNUSED_PAD src0_sel:DWORD src1_sel:WORD_1
	v_mul_f16_sdwa v44, v29, v13 dst_sel:DWORD dst_unused:UNUSED_PAD src0_sel:DWORD src1_sel:WORD_1
	v_mul_f16_sdwa v45, v33, v14 dst_sel:DWORD dst_unused:UNUSED_PAD src0_sel:DWORD src1_sel:WORD_1
	v_mul_f16_sdwa v46, v11, v14 dst_sel:DWORD dst_unused:UNUSED_PAD src0_sel:DWORD src1_sel:WORD_1
	v_mul_f16_sdwa v39, v30, v6 dst_sel:DWORD dst_unused:UNUSED_PAD src0_sel:DWORD src1_sel:WORD_1
	v_mul_f16_sdwa v40, v19, v6 dst_sel:DWORD dst_unused:UNUSED_PAD src0_sel:DWORD src1_sel:WORD_1
	v_mul_f16_sdwa v41, v31, v7 dst_sel:DWORD dst_unused:UNUSED_PAD src0_sel:DWORD src1_sel:WORD_1
	v_mul_f16_sdwa v42, v28, v7 dst_sel:DWORD dst_unused:UNUSED_PAD src0_sel:DWORD src1_sel:WORD_1
	v_fma_f16 v17, v17, v4, -v34
	v_fmac_f16_e32 v36, v15, v4
	v_fma_f16 v15, v18, v5, -v37
	v_fmac_f16_e32 v38, v20, v5
	;; [unrolled: 2-line block ×6, first 2 shown]
	v_add_f16_e32 v28, v17, v11
	v_add_f16_e32 v29, v36, v46
	;; [unrolled: 1-line block ×4, first 2 shown]
	v_sub_f16_e32 v11, v17, v11
	v_sub_f16_e32 v17, v36, v46
	;; [unrolled: 1-line block ×4, first 2 shown]
	v_add_f16_e32 v32, v18, v19
	v_add_f16_e32 v33, v40, v42
	v_sub_f16_e32 v18, v19, v18
	v_sub_f16_e32 v19, v42, v40
	v_add_f16_e32 v34, v30, v28
	v_add_f16_e32 v36, v31, v29
	v_sub_f16_e32 v37, v30, v28
	v_sub_f16_e32 v38, v31, v29
	;; [unrolled: 1-line block ×6, first 2 shown]
	v_add_f16_e32 v39, v18, v15
	v_add_f16_e32 v40, v19, v20
	v_sub_f16_e32 v41, v18, v15
	v_sub_f16_e32 v42, v19, v20
	;; [unrolled: 1-line block ×4, first 2 shown]
	v_add_f16_e32 v32, v32, v34
	v_add_f16_e32 v33, v33, v36
	v_sub_f16_e32 v18, v11, v18
	v_sub_f16_e32 v19, v17, v19
	v_add_f16_e32 v11, v39, v11
	v_add_f16_e32 v17, v40, v17
	v_mul_f16_e32 v34, 0x3a52, v28
	v_mul_f16_e32 v29, 0x3a52, v29
	;; [unrolled: 1-line block ×8, first 2 shown]
	v_add_f16_e32 v15, v16, v32
	v_add_f16_sdwa v28, v16, v33 dst_sel:DWORD dst_unused:UNUSED_PAD src0_sel:WORD_1 src1_sel:DWORD
	v_fmamk_f16 v16, v30, 0x2b26, v34
	v_fmamk_f16 v30, v31, 0x2b26, v29
	v_fma_f16 v31, v37, 0x39e0, -v36
	v_fma_f16 v36, v38, 0x39e0, -v39
	;; [unrolled: 1-line block ×4, first 2 shown]
	v_fmamk_f16 v37, v18, 0x3574, v40
	v_fmamk_f16 v38, v19, 0x3574, v41
	v_fma_f16 v39, v43, 0x3b00, -v40
	v_fma_f16 v40, v20, 0x3b00, -v41
	;; [unrolled: 1-line block ×4, first 2 shown]
	v_fmamk_f16 v19, v32, 0xbcab, v15
	v_fmamk_f16 v20, v33, 0xbcab, v28
	v_fmac_f16_e32 v37, 0x370e, v11
	v_fmac_f16_e32 v38, 0x370e, v17
	;; [unrolled: 1-line block ×4, first 2 shown]
	v_add_f16_e32 v11, v16, v19
	v_add_f16_e32 v33, v30, v20
	v_fmac_f16_e32 v40, 0x370e, v17
	v_fmac_f16_e32 v18, 0x370e, v17
	v_add_f16_e32 v17, v31, v19
	v_add_f16_e32 v43, v34, v19
	v_add_f16_e32 v29, v29, v20
	v_add_f16_e32 v30, v36, v20
	v_add_f16_e32 v16, v38, v11
	v_sub_f16_e32 v31, v33, v37
	v_add_f16_e32 v19, v18, v43
	v_sub_f16_e32 v34, v29, v41
	v_sub_f16_e32 v20, v17, v40
	v_add_f16_e32 v32, v39, v30
	v_add_f16_e32 v17, v40, v17
	v_sub_f16_e32 v30, v30, v39
	v_sub_f16_e32 v18, v43, v18
	v_add_f16_e32 v29, v41, v29
	v_sub_f16_e32 v11, v11, v38
	v_add_f16_e32 v33, v37, v33
	v_pack_b32_f16 v42, v15, v28
	v_pack_b32_f16 v36, v16, v31
	v_pack_b32_f16 v37, v19, v34
	v_pack_b32_f16 v38, v20, v32
	v_pack_b32_f16 v39, v17, v30
	v_pack_b32_f16 v40, v18, v29
	v_pack_b32_f16 v41, v11, v33
	ds_write2_b32 v21, v42, v36 offset1:63
	ds_write2_b32 v21, v37, v38 offset0:126 offset1:189
	ds_write2_b32 v35, v39, v40 offset0:124 offset1:187
	ds_write_b32 v21, v41 offset:1512
	s_waitcnt lgkmcnt(0)
	s_barrier
	buffer_gl0_inv
	s_and_saveexec_b32 s4, vcc_lo
	s_cbranch_execz .LBB0_9
; %bb.8:
	global_load_dword v37, v21, s[8:9] offset:1764
	s_add_u32 s10, s8, 0x6e4
	s_addc_u32 s11, s9, 0
	s_clause 0x7
	global_load_dword v38, v21, s[10:11] offset:196
	global_load_dword v41, v21, s[10:11] offset:392
	;; [unrolled: 1-line block ×8, first 2 shown]
	ds_read2_b32 v[35:36], v21 offset1:49
	s_waitcnt lgkmcnt(0)
	v_lshrrev_b32_e32 v39, 16, v35
	v_lshrrev_b32_e32 v40, 16, v36
	s_waitcnt vmcnt(7)
	v_mul_f16_sdwa v50, v40, v38 dst_sel:DWORD dst_unused:UNUSED_PAD src0_sel:DWORD src1_sel:WORD_1
	v_mul_f16_sdwa v51, v36, v38 dst_sel:DWORD dst_unused:UNUSED_PAD src0_sel:DWORD src1_sel:WORD_1
	;; [unrolled: 1-line block ×4, first 2 shown]
	v_fma_f16 v36, v36, v38, -v50
	v_fmac_f16_e32 v51, v40, v38
	v_fma_f16 v35, v35, v37, -v48
	v_fmac_f16_e32 v49, v39, v37
	v_add_nc_u32_e32 v48, 0x400, v21
	v_pack_b32_f16 v36, v36, v51
	v_pack_b32_f16 v35, v35, v49
	ds_write2_b32 v21, v35, v36 offset1:49
	ds_read2_b32 v[35:36], v21 offset0:98 offset1:147
	ds_read2_b32 v[37:38], v21 offset0:196 offset1:245
	;; [unrolled: 1-line block ×3, first 2 shown]
	ds_read_b32 v49, v21 offset:1568
	s_waitcnt lgkmcnt(2)
	v_lshrrev_b32_e32 v54, 16, v37
	v_lshrrev_b32_e32 v50, 16, v35
	s_waitcnt vmcnt(6)
	v_mul_f16_sdwa v51, v35, v41 dst_sel:DWORD dst_unused:UNUSED_PAD src0_sel:DWORD src1_sel:WORD_1
	v_lshrrev_b32_e32 v52, 16, v36
	s_waitcnt vmcnt(5)
	v_mul_f16_sdwa v53, v36, v42 dst_sel:DWORD dst_unused:UNUSED_PAD src0_sel:DWORD src1_sel:WORD_1
	s_waitcnt vmcnt(4)
	v_mul_f16_sdwa v55, v37, v43 dst_sel:DWORD dst_unused:UNUSED_PAD src0_sel:DWORD src1_sel:WORD_1
	v_lshrrev_b32_e32 v56, 16, v38
	s_waitcnt vmcnt(3)
	v_mul_f16_sdwa v57, v38, v44 dst_sel:DWORD dst_unused:UNUSED_PAD src0_sel:DWORD src1_sel:WORD_1
	s_waitcnt lgkmcnt(1)
	v_lshrrev_b32_e32 v58, 16, v39
	s_waitcnt vmcnt(2)
	v_mul_f16_sdwa v59, v39, v45 dst_sel:DWORD dst_unused:UNUSED_PAD src0_sel:DWORD src1_sel:WORD_1
	v_lshrrev_b32_e32 v60, 16, v40
	s_waitcnt vmcnt(1)
	v_mul_f16_sdwa v61, v40, v46 dst_sel:DWORD dst_unused:UNUSED_PAD src0_sel:DWORD src1_sel:WORD_1
	s_waitcnt lgkmcnt(0)
	v_lshrrev_b32_e32 v62, 16, v49
	v_mul_f16_sdwa v64, v50, v41 dst_sel:DWORD dst_unused:UNUSED_PAD src0_sel:DWORD src1_sel:WORD_1
	v_fmac_f16_e32 v51, v50, v41
	v_mul_f16_sdwa v50, v52, v42 dst_sel:DWORD dst_unused:UNUSED_PAD src0_sel:DWORD src1_sel:WORD_1
	v_fmac_f16_e32 v53, v52, v42
	;; [unrolled: 2-line block ×5, first 2 shown]
	v_mul_f16_sdwa v58, v60, v46 dst_sel:DWORD dst_unused:UNUSED_PAD src0_sel:DWORD src1_sel:WORD_1
	s_waitcnt vmcnt(0)
	v_mul_f16_sdwa v63, v49, v47 dst_sel:DWORD dst_unused:UNUSED_PAD src0_sel:DWORD src1_sel:WORD_1
	v_fmac_f16_e32 v61, v60, v46
	v_mul_f16_sdwa v60, v62, v47 dst_sel:DWORD dst_unused:UNUSED_PAD src0_sel:DWORD src1_sel:WORD_1
	v_fma_f16 v35, v35, v41, -v64
	v_fma_f16 v36, v36, v42, -v50
	;; [unrolled: 1-line block ×6, first 2 shown]
	v_fmac_f16_e32 v63, v62, v47
	v_fma_f16 v41, v49, v47, -v60
	v_pack_b32_f16 v35, v35, v51
	v_pack_b32_f16 v36, v36, v53
	;; [unrolled: 1-line block ×7, first 2 shown]
	ds_write2_b32 v21, v35, v36 offset0:98 offset1:147
	ds_write2_b32 v21, v37, v38 offset0:196 offset1:245
	ds_write2_b32 v48, v39, v40 offset0:38 offset1:87
	ds_write_b32 v21, v41 offset:1568
.LBB0_9:
	s_or_b32 exec_lo, exec_lo, s4
	s_waitcnt lgkmcnt(0)
	s_barrier
	buffer_gl0_inv
	s_and_saveexec_b32 s4, vcc_lo
	s_cbranch_execz .LBB0_11
; %bb.10:
	v_add_nc_u32_e32 v11, 0x400, v21
	ds_read2_b32 v[15:16], v21 offset1:49
	ds_read2_b32 v[19:20], v21 offset0:98 offset1:147
	ds_read2_b32 v[17:18], v21 offset0:196 offset1:245
	;; [unrolled: 1-line block ×3, first 2 shown]
	ds_read_b32 v25, v21 offset:1568
	s_waitcnt lgkmcnt(3)
	v_lshrrev_b32_e32 v34, 16, v19
	v_lshrrev_b32_e32 v28, 16, v15
	;; [unrolled: 1-line block ×4, first 2 shown]
	s_waitcnt lgkmcnt(2)
	v_lshrrev_b32_e32 v30, 16, v17
	v_lshrrev_b32_e32 v29, 16, v18
	s_waitcnt lgkmcnt(1)
	v_lshrrev_b32_e32 v33, 16, v11
	v_lshrrev_b32_e32 v27, 16, v12
	s_waitcnt lgkmcnt(0)
	v_lshrrev_b32_e32 v26, 16, v25
.LBB0_11:
	s_or_b32 exec_lo, exec_lo, s4
	s_barrier
	buffer_gl0_inv
	s_and_saveexec_b32 s4, vcc_lo
	s_cbranch_execz .LBB0_13
; %bb.12:
	v_sub_f16_e32 v35, v30, v29
	v_add_f16_e32 v38, v12, v19
	v_sub_f16_e32 v39, v34, v27
	v_add_f16_e32 v41, v18, v17
	v_sub_f16_e32 v37, v32, v33
	v_mul_f16_e32 v40, 0x3be1, v35
	v_fmamk_f16 v43, v38, 0x3a21, v15
	v_add_f16_e32 v42, v11, v20
	v_sub_f16_e32 v36, v31, v26
	v_add_f16_e32 v45, v25, v16
	v_fma_f16 v40, v39, 0xb924, -v40
	v_fmac_f16_e32 v43, 0x318f, v41
	v_add_f16_e32 v27, v27, v34
	v_add_f16_e32 v26, v26, v31
	v_sub_f16_e32 v16, v16, v25
	v_fmac_f16_e32 v40, 0x3aee, v37
	v_fmac_f16_e32 v43, -0.5, v42
	v_add_f16_e32 v25, v33, v32
	v_add_f16_e32 v31, v27, v26
	;; [unrolled: 1-line block ×3, first 2 shown]
	v_fmac_f16_e32 v40, 0x3579, v36
	v_fmac_f16_e32 v43, 0xbb84, v45
	v_sub_f16_e32 v44, v17, v18
	v_add_f16_e32 v34, v29, v30
	v_add_f16_e32 v46, v42, v32
	;; [unrolled: 1-line block ×3, first 2 shown]
	v_sub_f16_e32 v33, v43, v40
	v_add_f16_e32 v43, v25, v31
	v_add_f16_e32 v48, v35, v36
	;; [unrolled: 1-line block ×3, first 2 shown]
	v_sub_f16_e32 v12, v19, v12
	v_mul_f16_e32 v19, 0x3be1, v44
	v_add_f16_e32 v30, v30, v43
	v_sub_f16_e32 v43, v48, v39
	v_fmac_f16_e32 v47, -0.5, v32
	v_add_f16_e32 v32, v44, v16
	v_add_f16_e32 v48, v25, v28
	;; [unrolled: 1-line block ×3, first 2 shown]
	v_sub_f16_e32 v11, v20, v11
	v_fma_f16 v19, v12, 0xb924, -v19
	v_add_f16_e32 v17, v17, v46
	v_sub_f16_e32 v32, v32, v12
	v_fmac_f16_e32 v48, -0.5, v31
	v_add_f16_e32 v29, v29, v30
	v_fmac_f16_e32 v19, 0x3aee, v11
	v_add_f16_e32 v17, v18, v17
	v_fma_f16 v30, 2.0, v40, v33
	v_mul_f16_e32 v40, 0xb924, v35
	v_mul_f16_e32 v46, 0xb924, v44
	v_fmamk_f16 v20, v27, 0x3a21, v28
	v_mul_f16_e32 v18, 0x3aee, v43
	v_fmac_f16_e32 v47, 0xbaee, v43
	v_fmamk_f16 v43, v41, 0x3a21, v15
	v_mul_f16_e32 v31, 0x3aee, v32
	v_fmac_f16_e32 v48, 0x3aee, v32
	v_fmamk_f16 v32, v34, 0x3a21, v28
	v_fmac_f16_e32 v19, 0x3579, v16
	v_add_f16_e32 v29, v28, v29
	v_add_f16_e32 v17, v15, v17
	v_fmac_f16_e32 v40, 0x3be1, v36
	v_fmac_f16_e32 v46, 0x3be1, v16
	;; [unrolled: 1-line block ×3, first 2 shown]
	v_mul_f16_e32 v36, 0x3924, v36
	v_mul_f16_e32 v16, 0x3924, v16
	v_fmac_f16_e32 v28, 0x3a21, v26
	v_fmac_f16_e32 v20, 0x318f, v34
	;; [unrolled: 1-line block ×8, first 2 shown]
	v_fmac_f16_e32 v20, -0.5, v25
	v_fmac_f16_e32 v40, 0xbaee, v37
	v_fmac_f16_e32 v43, -0.5, v42
	v_fmac_f16_e32 v46, 0xbaee, v11
	v_fmac_f16_e32 v32, -0.5, v25
	v_fmac_f16_e32 v15, -0.5, v42
	v_fmac_f16_e32 v36, 0x3aee, v37
	v_fmac_f16_e32 v16, 0x3aee, v11
	v_fmac_f16_e32 v28, -0.5, v25
	v_fmac_f16_e32 v20, 0xbb84, v26
	v_fmac_f16_e32 v40, 0x3579, v39
	;; [unrolled: 1-line block ×9, first 2 shown]
	v_add_f16_e32 v20, v19, v20
	v_sub_f16_e32 v12, v43, v40
	v_add_f16_e32 v25, v46, v32
	v_sub_f16_e32 v15, v15, v36
	v_add_f16_e32 v26, v16, v28
	v_mov_b32_e32 v27, 2
	v_fma_f16 v19, -2.0, v19, v20
	v_fma_f16 v18, 2.0, v18, v47
	v_fma_f16 v11, -2.0, v31, v48
	v_fma_f16 v28, 2.0, v40, v12
	;; [unrolled: 2-line block ×3, first 2 shown]
	v_fma_f16 v16, -2.0, v16, v26
	v_lshlrev_b32_sdwa v23, v27, v23 dst_sel:DWORD dst_unused:UNUSED_PAD src0_sel:DWORD src1_sel:WORD_0
	v_pack_b32_f16 v15, v15, v26
	v_pack_b32_f16 v17, v17, v29
	;; [unrolled: 1-line block ×9, first 2 shown]
	ds_write2_b32 v23, v17, v15 offset1:1
	ds_write2_b32 v23, v12, v26 offset0:2 offset1:3
	ds_write2_b32 v23, v20, v19 offset0:4 offset1:5
	;; [unrolled: 1-line block ×3, first 2 shown]
	ds_write_b32 v23, v16 offset:32
.LBB0_13:
	s_or_b32 exec_lo, exec_lo, s4
	s_waitcnt lgkmcnt(0)
	s_barrier
	buffer_gl0_inv
	ds_read2_b32 v[15:16], v21 offset1:63
	ds_read2_b32 v[17:18], v21 offset0:126 offset1:189
	v_add_nc_u32_e32 v11, 0x200, v21
	ds_read_b32 v12, v21 offset:1512
	ds_read2_b32 v[19:20], v11 offset0:124 offset1:187
	s_waitcnt lgkmcnt(0)
	s_barrier
	buffer_gl0_inv
	v_lshrrev_b32_e32 v23, 16, v16
	v_lshrrev_b32_e32 v25, 16, v17
	v_mul_f16_sdwa v28, v0, v16 dst_sel:DWORD dst_unused:UNUSED_PAD src0_sel:WORD_1 src1_sel:DWORD
	v_lshrrev_b32_e32 v26, 16, v18
	v_mul_f16_sdwa v29, v1, v17 dst_sel:DWORD dst_unused:UNUSED_PAD src0_sel:WORD_1 src1_sel:DWORD
	;; [unrolled: 2-line block ×3, first 2 shown]
	v_lshrrev_b32_e32 v32, 16, v19
	v_lshrrev_b32_e32 v33, 16, v20
	v_mul_f16_sdwa v34, v0, v23 dst_sel:DWORD dst_unused:UNUSED_PAD src0_sel:WORD_1 src1_sel:DWORD
	v_fma_f16 v23, v0, v23, -v28
	v_mul_f16_sdwa v28, v1, v25 dst_sel:DWORD dst_unused:UNUSED_PAD src0_sel:WORD_1 src1_sel:DWORD
	v_mul_f16_sdwa v31, v10, v12 dst_sel:DWORD dst_unused:UNUSED_PAD src0_sel:WORD_1 src1_sel:DWORD
	v_fma_f16 v25, v1, v25, -v29
	v_mul_f16_sdwa v29, v2, v26 dst_sel:DWORD dst_unused:UNUSED_PAD src0_sel:WORD_1 src1_sel:DWORD
	v_fma_f16 v26, v2, v26, -v30
	v_mul_f16_sdwa v30, v3, v19 dst_sel:DWORD dst_unused:UNUSED_PAD src0_sel:WORD_1 src1_sel:DWORD
	v_mul_f16_sdwa v35, v9, v20 dst_sel:DWORD dst_unused:UNUSED_PAD src0_sel:WORD_1 src1_sel:DWORD
	;; [unrolled: 1-line block ×3, first 2 shown]
	v_fmac_f16_e32 v34, v0, v16
	v_fmac_f16_e32 v28, v1, v17
	v_mul_f16_sdwa v0, v3, v32 dst_sel:DWORD dst_unused:UNUSED_PAD src0_sel:WORD_1 src1_sel:DWORD
	v_mul_f16_sdwa v1, v9, v33 dst_sel:DWORD dst_unused:UNUSED_PAD src0_sel:WORD_1 src1_sel:DWORD
	v_fma_f16 v27, v10, v27, -v31
	v_fmac_f16_e32 v29, v2, v18
	v_fmac_f16_e32 v36, v10, v12
	v_fma_f16 v2, v3, v32, -v30
	v_fmac_f16_e32 v0, v3, v19
	v_fmac_f16_e32 v1, v9, v20
	v_fma_f16 v3, v9, v33, -v35
	v_add_f16_e32 v9, v34, v36
	v_add_f16_e32 v10, v23, v27
	v_sub_f16_e32 v16, v23, v27
	v_add_f16_e32 v17, v28, v1
	v_add_f16_e32 v18, v25, v3
	v_sub_f16_e32 v1, v28, v1
	v_sub_f16_e32 v3, v25, v3
	v_add_f16_e32 v19, v29, v0
	v_add_f16_e32 v20, v26, v2
	v_sub_f16_e32 v0, v0, v29
	;; [unrolled: 4-line block ×3, first 2 shown]
	v_sub_f16_e32 v26, v17, v9
	v_sub_f16_e32 v27, v18, v10
	;; [unrolled: 1-line block ×6, first 2 shown]
	v_add_f16_e32 v28, v0, v1
	v_add_f16_e32 v29, v2, v3
	v_sub_f16_e32 v30, v0, v1
	v_sub_f16_e32 v31, v2, v3
	v_add_f16_e32 v19, v19, v23
	v_add_f16_e32 v20, v20, v25
	v_sub_f16_e32 v1, v1, v12
	v_sub_f16_e32 v3, v3, v16
	;; [unrolled: 1-line block ×4, first 2 shown]
	v_add_f16_e32 v12, v28, v12
	v_add_f16_e32 v16, v29, v16
	;; [unrolled: 1-line block ×3, first 2 shown]
	v_add_f16_sdwa v15, v15, v20 dst_sel:DWORD dst_unused:UNUSED_PAD src0_sel:WORD_1 src1_sel:DWORD
	v_mul_f16_e32 v9, 0x3a52, v9
	v_mul_f16_e32 v10, 0x3a52, v10
	;; [unrolled: 1-line block ×8, first 2 shown]
	v_fmamk_f16 v19, v19, 0xbcab, v23
	v_fmamk_f16 v20, v20, 0xbcab, v15
	v_fmamk_f16 v17, v17, 0x2b26, v9
	v_fmamk_f16 v18, v18, 0x2b26, v10
	v_fma_f16 v25, v26, 0x39e0, -v25
	v_fma_f16 v28, v27, 0x39e0, -v28
	v_fma_f16 v9, v26, 0xb9e0, -v9
	v_fma_f16 v10, v27, 0xb9e0, -v10
	v_fmamk_f16 v26, v0, 0xb574, v29
	v_fmamk_f16 v27, v2, 0xb574, v30
	v_fma_f16 v1, v1, 0xbb00, -v29
	v_fma_f16 v3, v3, 0xbb00, -v30
	;; [unrolled: 1-line block ×4, first 2 shown]
	v_add_f16_e32 v17, v17, v19
	v_add_f16_e32 v18, v18, v20
	v_fmac_f16_e32 v26, 0xb70e, v12
	v_fmac_f16_e32 v27, 0xb70e, v16
	v_add_f16_e32 v25, v25, v19
	v_add_f16_e32 v28, v28, v20
	;; [unrolled: 1-line block ×4, first 2 shown]
	v_fmac_f16_e32 v1, 0xb70e, v12
	v_fmac_f16_e32 v2, 0xb70e, v16
	;; [unrolled: 1-line block ×4, first 2 shown]
	v_add_f16_e32 v12, v27, v17
	v_sub_f16_e32 v16, v18, v26
	v_add_f16_e32 v19, v2, v9
	v_sub_f16_e32 v20, v10, v0
	v_sub_f16_e32 v29, v25, v3
	v_add_f16_e32 v30, v1, v28
	v_add_f16_e32 v3, v3, v25
	v_sub_f16_e32 v1, v28, v1
	v_sub_f16_e32 v2, v9, v2
	v_add_f16_e32 v0, v0, v10
	v_sub_f16_e32 v9, v17, v27
	v_add_f16_e32 v10, v26, v18
	v_pack_b32_f16 v15, v23, v15
	v_pack_b32_f16 v12, v12, v16
	;; [unrolled: 1-line block ×7, first 2 shown]
	ds_write2_b32 v24, v15, v12 offset1:9
	ds_write2_b32 v24, v16, v17 offset0:18 offset1:27
	ds_write2_b32 v24, v1, v0 offset0:36 offset1:45
	ds_write_b32 v24, v2 offset:216
	s_waitcnt lgkmcnt(0)
	s_barrier
	buffer_gl0_inv
	ds_read2_b32 v[0:1], v21 offset1:63
	ds_read2_b32 v[2:3], v21 offset0:126 offset1:189
	ds_read2_b32 v[9:10], v11 offset0:124 offset1:187
	ds_read_b32 v12, v21 offset:1512
	s_waitcnt lgkmcnt(3)
	v_lshrrev_b32_e32 v15, 16, v1
	s_waitcnt lgkmcnt(2)
	v_lshrrev_b32_e32 v16, 16, v2
	v_lshrrev_b32_e32 v17, 16, v3
	v_mul_f16_sdwa v19, v4, v1 dst_sel:DWORD dst_unused:UNUSED_PAD src0_sel:WORD_1 src1_sel:DWORD
	s_waitcnt lgkmcnt(1)
	v_lshrrev_b32_e32 v20, 16, v9
	v_mul_f16_sdwa v18, v4, v15 dst_sel:DWORD dst_unused:UNUSED_PAD src0_sel:WORD_1 src1_sel:DWORD
	v_lshrrev_b32_e32 v23, 16, v10
	s_waitcnt lgkmcnt(0)
	v_lshrrev_b32_e32 v24, 16, v12
	v_mul_f16_sdwa v25, v6, v3 dst_sel:DWORD dst_unused:UNUSED_PAD src0_sel:WORD_1 src1_sel:DWORD
	v_mul_f16_sdwa v26, v7, v20 dst_sel:DWORD dst_unused:UNUSED_PAD src0_sel:WORD_1 src1_sel:DWORD
	v_fmac_f16_e32 v18, v4, v1
	v_fma_f16 v1, v4, v15, -v19
	v_mul_f16_sdwa v4, v5, v16 dst_sel:DWORD dst_unused:UNUSED_PAD src0_sel:WORD_1 src1_sel:DWORD
	v_mul_f16_sdwa v15, v5, v2 dst_sel:DWORD dst_unused:UNUSED_PAD src0_sel:WORD_1 src1_sel:DWORD
	;; [unrolled: 1-line block ×3, first 2 shown]
	v_fmac_f16_e32 v26, v7, v9
	v_mul_f16_sdwa v9, v7, v9 dst_sel:DWORD dst_unused:UNUSED_PAD src0_sel:WORD_1 src1_sel:DWORD
	v_fmac_f16_e32 v4, v5, v2
	v_fma_f16 v2, v5, v16, -v15
	v_fmac_f16_e32 v19, v6, v3
	v_fma_f16 v3, v6, v17, -v25
	v_mul_f16_sdwa v5, v14, v24 dst_sel:DWORD dst_unused:UNUSED_PAD src0_sel:WORD_1 src1_sel:DWORD
	v_mul_f16_sdwa v6, v14, v12 dst_sel:DWORD dst_unused:UNUSED_PAD src0_sel:WORD_1 src1_sel:DWORD
	;; [unrolled: 1-line block ×4, first 2 shown]
	v_fma_f16 v7, v7, v20, -v9
	v_fmac_f16_e32 v5, v14, v12
	v_fma_f16 v6, v14, v24, -v6
	v_fmac_f16_e32 v15, v13, v10
	v_fma_f16 v9, v13, v23, -v16
	v_add_f16_e32 v14, v3, v7
	v_add_f16_e32 v10, v18, v5
	;; [unrolled: 1-line block ×3, first 2 shown]
	v_sub_f16_e32 v1, v1, v6
	v_add_f16_e32 v6, v4, v15
	v_add_f16_e32 v13, v2, v9
	v_sub_f16_e32 v4, v4, v15
	v_sub_f16_e32 v2, v2, v9
	v_add_f16_e32 v9, v19, v26
	v_sub_f16_e32 v15, v26, v19
	v_sub_f16_e32 v3, v7, v3
	v_add_f16_e32 v7, v6, v10
	v_add_f16_e32 v16, v13, v12
	v_sub_f16_e32 v5, v18, v5
	v_sub_f16_e32 v17, v6, v10
	;; [unrolled: 1-line block ×7, first 2 shown]
	v_add_f16_e32 v19, v15, v4
	v_add_f16_e32 v20, v3, v2
	v_sub_f16_e32 v23, v15, v4
	v_sub_f16_e32 v24, v3, v2
	v_add_f16_e32 v7, v9, v7
	v_add_f16_e32 v9, v14, v16
	v_sub_f16_e32 v4, v4, v5
	v_sub_f16_e32 v2, v2, v1
	;; [unrolled: 1-line block ×4, first 2 shown]
	v_add_f16_e32 v5, v19, v5
	v_add_f16_e32 v1, v20, v1
	;; [unrolled: 1-line block ×3, first 2 shown]
	v_add_f16_sdwa v0, v0, v9 dst_sel:DWORD dst_unused:UNUSED_PAD src0_sel:WORD_1 src1_sel:DWORD
	v_mul_f16_e32 v10, 0x3a52, v10
	v_mul_f16_e32 v12, 0x3a52, v12
	;; [unrolled: 1-line block ×8, first 2 shown]
	v_fmamk_f16 v7, v7, 0xbcab, v14
	v_fmamk_f16 v9, v9, 0xbcab, v0
	v_fmamk_f16 v6, v6, 0x2b26, v10
	v_fmamk_f16 v13, v13, 0x2b26, v12
	v_fma_f16 v16, v17, 0x39e0, -v16
	v_fma_f16 v19, v18, 0x39e0, -v19
	;; [unrolled: 1-line block ×4, first 2 shown]
	v_fmamk_f16 v17, v15, 0xb574, v20
	v_fmamk_f16 v18, v3, 0xb574, v23
	v_fma_f16 v4, v4, 0xbb00, -v20
	v_fma_f16 v2, v2, 0xbb00, -v23
	;; [unrolled: 1-line block ×4, first 2 shown]
	v_add_f16_e32 v6, v6, v7
	v_add_f16_e32 v13, v13, v9
	v_fmac_f16_e32 v17, 0xb70e, v5
	v_fmac_f16_e32 v18, 0xb70e, v1
	v_add_f16_e32 v16, v16, v7
	v_add_f16_e32 v19, v19, v9
	;; [unrolled: 1-line block ×4, first 2 shown]
	v_fmac_f16_e32 v4, 0xb70e, v5
	v_fmac_f16_e32 v3, 0xb70e, v1
	;; [unrolled: 1-line block ×4, first 2 shown]
	v_add_f16_e32 v1, v18, v6
	v_sub_f16_e32 v5, v13, v17
	v_add_f16_e32 v10, v3, v7
	v_sub_f16_e32 v12, v9, v15
	v_sub_f16_e32 v20, v16, v2
	v_add_f16_e32 v23, v4, v19
	v_add_f16_e32 v2, v2, v16
	v_sub_f16_e32 v4, v19, v4
	v_sub_f16_e32 v3, v7, v3
	v_add_f16_e32 v7, v15, v9
	v_sub_f16_e32 v6, v6, v18
	v_add_f16_e32 v9, v17, v13
	v_pack_b32_f16 v0, v14, v0
	v_pack_b32_f16 v1, v1, v5
	;; [unrolled: 1-line block ×7, first 2 shown]
	ds_write2_b32 v21, v0, v1 offset1:63
	ds_write2_b32 v21, v5, v10 offset0:126 offset1:189
	ds_write2_b32 v11, v2, v3 offset0:124 offset1:187
	ds_write_b32 v21, v4 offset:1512
	s_waitcnt lgkmcnt(0)
	s_barrier
	buffer_gl0_inv
	s_and_b32 exec_lo, exec_lo, vcc_lo
	s_cbranch_execz .LBB0_15
; %bb.14:
	s_clause 0x5
	global_load_dword v2, v21, s[8:9]
	global_load_dword v3, v21, s[8:9] offset:196
	global_load_dword v7, v21, s[8:9] offset:392
	;; [unrolled: 1-line block ×5, first 2 shown]
	v_mad_u64_u32 v[9:10], null, s2, v8, 0
	v_mad_u64_u32 v[12:13], null, s0, v22, 0
	global_load_dword v4, v21, s[8:9] offset:1176
	ds_read_b32 v25, v21
	ds_read2_b32 v[14:15], v21 offset0:49 offset1:98
	ds_read2_b32 v[16:17], v21 offset0:147 offset1:196
	s_mov_b32 s20, 0x5bb804a5
	v_mov_b32_e32 v0, v10
	s_mov_b32 s21, 0x3f629372
	v_mov_b32_e32 v5, v13
	s_mul_i32 s2, s1, 0xc4
	s_mul_hi_u32 s22, s0, 0xc4
	v_mad_u64_u32 v[18:19], null, s3, v8, v[0:1]
	v_mad_u64_u32 v[19:20], null, s1, v22, v[5:6]
	ds_read2_b32 v[0:1], v11 offset0:117 offset1:166
	s_mul_i32 s19, s0, 0xc4
	s_add_i32 s22, s22, s2
	s_clause 0x1
	global_load_dword v5, v21, s[8:9] offset:1372
	global_load_dword v6, v21, s[8:9] offset:1568
	v_mov_b32_e32 v10, v18
	v_mov_b32_e32 v13, v19
	s_waitcnt lgkmcnt(3)
	v_lshrrev_b32_e32 v18, 16, v25
	s_waitcnt lgkmcnt(2)
	v_lshrrev_b32_e32 v20, 16, v14
	v_lshlrev_b64 v[8:9], 2, v[9:10]
	v_lshlrev_b64 v[10:11], 2, v[12:13]
	v_lshrrev_b32_e32 v19, 16, v15
	s_waitcnt lgkmcnt(1)
	v_lshrrev_b32_e32 v22, 16, v16
	v_lshrrev_b32_e32 v26, 16, v17
	v_add_co_u32 v8, vcc_lo, s6, v8
	v_add_co_ci_u32_e32 v9, vcc_lo, s7, v9, vcc_lo
	s_waitcnt lgkmcnt(0)
	v_lshrrev_b32_e32 v35, 16, v0
	v_add_co_u32 v8, vcc_lo, v8, v10
	v_add_co_ci_u32_e32 v9, vcc_lo, v9, v11, vcc_lo
	v_lshrrev_b32_e32 v40, 16, v1
	v_add_co_u32 v10, vcc_lo, v8, s19
	v_add_co_ci_u32_e32 v11, vcc_lo, s22, v9, vcc_lo
	s_waitcnt vmcnt(8)
	v_mul_f16_sdwa v12, v18, v2 dst_sel:DWORD dst_unused:UNUSED_PAD src0_sel:DWORD src1_sel:WORD_1
	v_mul_f16_sdwa v13, v25, v2 dst_sel:DWORD dst_unused:UNUSED_PAD src0_sel:DWORD src1_sel:WORD_1
	s_waitcnt vmcnt(7)
	v_mul_f16_sdwa v27, v20, v3 dst_sel:DWORD dst_unused:UNUSED_PAD src0_sel:DWORD src1_sel:WORD_1
	v_mul_f16_sdwa v28, v14, v3 dst_sel:DWORD dst_unused:UNUSED_PAD src0_sel:DWORD src1_sel:WORD_1
	s_waitcnt vmcnt(6)
	v_mul_f16_sdwa v29, v19, v7 dst_sel:DWORD dst_unused:UNUSED_PAD src0_sel:DWORD src1_sel:WORD_1
	v_fmac_f16_e32 v12, v25, v2
	v_fma_f16 v2, v2, v18, -v13
	v_fmac_f16_e32 v27, v14, v3
	v_fma_f16 v14, v3, v20, -v28
	v_mul_f16_sdwa v30, v15, v7 dst_sel:DWORD dst_unused:UNUSED_PAD src0_sel:DWORD src1_sel:WORD_1
	v_cvt_f32_f16_e32 v3, v12
	v_cvt_f32_f16_e32 v12, v2
	s_waitcnt vmcnt(5)
	v_mul_f16_sdwa v31, v22, v23 dst_sel:DWORD dst_unused:UNUSED_PAD src0_sel:DWORD src1_sel:WORD_1
	v_fmac_f16_e32 v29, v15, v7
	v_cvt_f32_f16_e32 v15, v27
	v_cvt_f64_f32_e32 v[2:3], v3
	v_cvt_f64_f32_e32 v[12:13], v12
	v_mul_f16_sdwa v32, v16, v23 dst_sel:DWORD dst_unused:UNUSED_PAD src0_sel:DWORD src1_sel:WORD_1
	s_waitcnt vmcnt(4)
	v_mul_f16_sdwa v33, v26, v24 dst_sel:DWORD dst_unused:UNUSED_PAD src0_sel:DWORD src1_sel:WORD_1
	v_mul_f16_sdwa v36, v17, v24 dst_sel:DWORD dst_unused:UNUSED_PAD src0_sel:DWORD src1_sel:WORD_1
	s_waitcnt vmcnt(3)
	v_mul_f16_sdwa v37, v35, v34 dst_sel:DWORD dst_unused:UNUSED_PAD src0_sel:DWORD src1_sel:WORD_1
	v_fmac_f16_e32 v31, v16, v23
	v_cvt_f32_f16_e32 v16, v14
	v_cvt_f64_f32_e32 v[14:15], v15
	v_mul_f16_sdwa v38, v0, v34 dst_sel:DWORD dst_unused:UNUSED_PAD src0_sel:DWORD src1_sel:WORD_1
	v_fma_f16 v7, v7, v19, -v30
	v_fma_f16 v18, v23, v22, -v32
	v_fmac_f16_e32 v33, v17, v24
	v_fma_f16 v19, v24, v26, -v36
	v_fmac_f16_e32 v37, v0, v34
	v_cvt_f32_f16_e32 v0, v29
	v_cvt_f64_f32_e32 v[16:17], v16
	v_cvt_f32_f16_e32 v7, v7
	v_cvt_f32_f16_e32 v26, v18
	v_cvt_f32_f16_e32 v30, v19
	v_cvt_f64_f32_e32 v[18:19], v0
	v_cvt_f32_f16_e32 v20, v31
	v_mul_f64 v[2:3], v[2:3], s[20:21]
	v_cvt_f64_f32_e32 v[22:23], v7
	v_mul_f64 v[12:13], v[12:13], s[20:21]
	v_fma_f16 v0, v34, v35, -v38
	v_cvt_f64_f32_e32 v[24:25], v20
	v_cvt_f32_f16_e32 v28, v33
	v_cvt_f64_f32_e32 v[26:27], v26
	v_add_co_u32 v34, vcc_lo, v10, s19
	v_mul_f64 v[14:15], v[14:15], s[20:21]
	v_cvt_f32_f16_e32 v0, v0
	v_cvt_f64_f32_e32 v[28:29], v28
	v_add_co_ci_u32_e32 v35, vcc_lo, s22, v11, vcc_lo
	v_cvt_f32_f16_e32 v32, v37
	v_cvt_f64_f32_e32 v[38:39], v0
	v_mul_f64 v[16:17], v[16:17], s[20:21]
	v_cvt_f64_f32_e32 v[30:31], v30
	v_add_co_u32 v36, vcc_lo, v34, s19
	v_mul_f64 v[18:19], v[18:19], s[20:21]
	v_add_co_ci_u32_e32 v37, vcc_lo, s22, v35, vcc_lo
	v_and_or_b32 v0, 0x1ff, v3, v2
	v_mul_f64 v[22:23], v[22:23], s[20:21]
	v_and_or_b32 v12, 0x1ff, v13, v12
	v_cvt_f64_f32_e32 v[32:33], v32
	v_mul_f64 v[24:25], v[24:25], s[20:21]
	v_cmp_ne_u32_e32 vcc_lo, 0, v0
	v_mul_f64 v[26:27], v[26:27], s[20:21]
	v_lshrrev_b32_e32 v2, 8, v3
	v_and_or_b32 v14, 0x1ff, v15, v14
	v_lshrrev_b32_e32 v42, 8, v15
	v_cndmask_b32_e64 v0, 0, 1, vcc_lo
	v_cmp_ne_u32_e32 vcc_lo, 0, v12
	v_mul_f64 v[28:29], v[28:29], s[20:21]
	v_bfe_u32 v43, v15, 20, 11
	v_bfe_u32 v7, v3, 20, 11
	v_and_or_b32 v16, 0x1ff, v17, v16
	v_cndmask_b32_e64 v12, 0, 1, vcc_lo
	v_cmp_ne_u32_e32 vcc_lo, 0, v14
	v_mul_f64 v[30:31], v[30:31], s[20:21]
	v_and_or_b32 v18, 0x1ff, v19, v18
	v_lshrrev_b32_e32 v20, 8, v13
	v_bfe_u32 v41, v13, 20, 11
	v_cndmask_b32_e64 v14, 0, 1, vcc_lo
	v_cmp_ne_u32_e32 vcc_lo, 0, v16
	v_and_or_b32 v22, 0x1ff, v23, v22
	v_mul_f64 v[32:33], v[32:33], s[20:21]
	v_and_or_b32 v24, 0x1ff, v25, v24
	v_lshrrev_b32_e32 v44, 8, v17
	v_cndmask_b32_e64 v16, 0, 1, vcc_lo
	v_cmp_ne_u32_e32 vcc_lo, 0, v18
	v_and_or_b32 v26, 0x1ff, v27, v26
	v_bfe_u32 v45, v17, 20, 11
	v_lshrrev_b32_e32 v46, 8, v19
	v_bfe_u32 v47, v19, 20, 11
	v_cndmask_b32_e64 v18, 0, 1, vcc_lo
	v_cmp_ne_u32_e32 vcc_lo, 0, v22
	v_and_or_b32 v28, 0x1ff, v29, v28
	v_bfe_u32 v49, v23, 20, 11
	v_bfe_u32 v51, v25, 20, 11
	;; [unrolled: 1-line block ×3, first 2 shown]
	v_cndmask_b32_e64 v22, 0, 1, vcc_lo
	v_cmp_ne_u32_e32 vcc_lo, 0, v24
	v_and_or_b32 v30, 0x1ff, v31, v30
	v_sub_nc_u32_e32 v62, 0x3f1, v43
	v_and_or_b32 v0, 0xffe, v2, v0
	v_and_or_b32 v14, 0xffe, v42, v14
	v_cndmask_b32_e64 v24, 0, 1, vcc_lo
	v_cmp_ne_u32_e32 vcc_lo, 0, v26
	v_and_or_b32 v32, 0x1ff, v33, v32
	v_lshrrev_b32_e32 v48, 8, v23
	v_lshrrev_b32_e32 v50, 8, v25
	v_lshrrev_b32_e32 v54, 8, v29
	v_cndmask_b32_e64 v26, 0, 1, vcc_lo
	v_cmp_ne_u32_e32 vcc_lo, 0, v28
	v_bfe_u32 v57, v31, 20, 11
	v_bfe_u32 v59, v33, 20, 11
	v_sub_nc_u32_e32 v60, 0x3f1, v7
	v_add_nc_u32_e32 v7, 0xfffffc10, v7
	v_cndmask_b32_e64 v28, 0, 1, vcc_lo
	v_cmp_ne_u32_e32 vcc_lo, 0, v30
	v_sub_nc_u32_e32 v61, 0x3f1, v41
	v_sub_nc_u32_e32 v63, 0x3f1, v45
	;; [unrolled: 1-line block ×4, first 2 shown]
	v_cndmask_b32_e64 v30, 0, 1, vcc_lo
	v_cmp_ne_u32_e32 vcc_lo, 0, v32
	v_sub_nc_u32_e32 v66, 0x3f1, v51
	v_sub_nc_u32_e32 v68, 0x3f1, v55
	v_and_or_b32 v12, 0xffe, v20, v12
	v_med3_i32 v42, v62, 0, 13
	v_cndmask_b32_e64 v32, 0, 1, vcc_lo
	v_and_or_b32 v16, 0xffe, v44, v16
	v_and_or_b32 v18, 0xffe, v46, v18
	v_or_b32_e32 v62, 0x1000, v14
	v_cmp_ne_u32_e32 vcc_lo, 0, v0
	v_bfe_u32 v53, v27, 20, 11
	v_lshrrev_b32_e32 v56, 8, v31
	v_lshrrev_b32_e32 v58, 8, v33
	v_add_nc_u32_e32 v41, 0xfffffc10, v41
	v_sub_nc_u32_e32 v69, 0x3f1, v57
	v_sub_nc_u32_e32 v70, 0x3f1, v59
	v_med3_i32 v2, v60, 0, 13
	v_med3_i32 v20, v61, 0, 13
	;; [unrolled: 1-line block ×4, first 2 shown]
	v_and_or_b32 v22, 0xffe, v48, v22
	v_med3_i32 v48, v65, 0, 13
	v_and_or_b32 v24, 0xffe, v50, v24
	v_med3_i32 v50, v66, 0, 13
	;; [unrolled: 2-line block ×3, first 2 shown]
	v_or_b32_e32 v60, 0x1000, v0
	v_lshl_or_b32 v61, v7, 12, v0
	v_cndmask_b32_e64 v0, 0, 1, vcc_lo
	v_or_b32_e32 v65, 0x1000, v16
	v_lshrrev_b32_e32 v66, v42, v62
	v_cmp_ne_u32_e32 vcc_lo, 0, v12
	v_or_b32_e32 v68, 0x1000, v18
	v_lshrrev_b32_e32 v52, 8, v27
	v_add_nc_u32_e32 v43, 0xfffffc10, v43
	v_sub_nc_u32_e32 v67, 0x3f1, v53
	v_and_or_b32 v30, 0xffe, v56, v30
	v_med3_i32 v56, v69, 0, 13
	v_and_or_b32 v32, 0xffe, v58, v32
	v_med3_i32 v58, v70, 0, 13
	v_or_b32_e32 v63, 0x1000, v12
	v_lshl_or_b32 v64, v41, 12, v12
	v_cndmask_b32_e64 v12, 0, 1, vcc_lo
	v_lshrrev_b32_e32 v69, v44, v65
	v_lshlrev_b32_e32 v42, v42, v66
	v_cmp_ne_u32_e32 vcc_lo, 0, v14
	v_lshrrev_b32_e32 v70, v46, v68
	v_or_b32_e32 v71, 0x1000, v22
	v_and_or_b32 v26, 0xffe, v52, v26
	v_med3_i32 v52, v67, 0, 13
	v_lshl_or_b32 v67, v43, 12, v14
	v_cndmask_b32_e64 v14, 0, 1, vcc_lo
	v_lshlrev_b32_e32 v44, v44, v69
	v_cmp_ne_u32_e32 vcc_lo, v42, v62
	v_or_b32_e32 v42, 0x1000, v24
	v_lshlrev_b32_e32 v46, v46, v70
	v_lshrrev_b32_e32 v62, v48, v71
	v_add_nc_u32_e32 v45, 0xfffffc10, v45
	v_cmp_ne_u32_e64 s0, v44, v65
	v_or_b32_e32 v44, 0x1000, v26
	v_cmp_ne_u32_e64 s1, v46, v68
	v_lshrrev_b32_e32 v46, v50, v42
	v_lshlrev_b32_e32 v48, v48, v62
	v_cmp_ne_u32_e64 s2, 0, v16
	v_lshl_or_b32 v65, v45, 12, v16
	v_lshrrev_b32_e32 v68, v52, v44
	v_lshlrev_b32_e32 v50, v50, v46
	v_add_nc_u32_e32 v47, 0xfffffc10, v47
	v_cndmask_b32_e64 v16, 0, 1, s2
	v_cmp_ne_u32_e64 s2, v48, v71
	v_or_b32_e32 v48, 0x1000, v28
	v_lshlrev_b32_e32 v52, v52, v68
	v_or_b32_e32 v71, 0x1000, v30
	v_cmp_ne_u32_e64 s3, v50, v42
	v_cmp_ne_u32_e64 s5, 0, v18
	v_lshrrev_b32_e32 v50, v54, v48
	v_add_nc_u32_e32 v49, 0xfffffc10, v49
	v_lshl_or_b32 v42, v47, 12, v18
	v_cmp_ne_u32_e64 s4, v52, v44
	v_lshrrev_b32_e32 v44, v56, v71
	v_cndmask_b32_e64 v18, 0, 1, s5
	v_lshlrev_b32_e32 v52, v54, v50
	v_cmp_ne_u32_e64 s5, 0, v22
	v_add_nc_u32_e32 v51, 0xfffffc10, v51
	v_lshl_or_b32 v54, v49, 12, v22
	v_lshlrev_b32_e32 v56, v56, v44
	v_cmp_ne_u32_e64 s7, 0, v24
	v_cndmask_b32_e64 v22, 0, 1, s5
	v_cmp_ne_u32_e64 s5, v52, v48
	v_lshrrev_b32_e32 v52, v2, v60
	v_add_nc_u32_e32 v53, 0xfffffc10, v53
	v_lshl_or_b32 v48, v51, 12, v24
	v_cmp_ne_u32_e64 s6, v56, v71
	v_lshrrev_b32_e32 v56, v20, v63
	v_cndmask_b32_e64 v24, 0, 1, s7
	v_lshlrev_b32_e32 v2, v2, v52
	v_cmp_ne_u32_e64 s7, 0, v26
	v_lshl_or_b32 v71, v53, 12, v26
	v_lshlrev_b32_e32 v20, v20, v56
	v_add_nc_u32_e32 v55, 0xfffffc10, v55
	v_add_nc_u32_e32 v57, 0xfffffc10, v57
	v_cndmask_b32_e64 v26, 0, 1, s7
	v_cmp_ne_u32_e64 s7, v2, v60
	v_lshl_or_b32 v0, v0, 9, 0x7c00
	v_lshl_or_b32 v2, v55, 12, v28
	;; [unrolled: 1-line block ×4, first 2 shown]
	v_cndmask_b32_e64 v60, 0, 1, s7
	v_cmp_ne_u32_e64 s7, v20, v63
	v_cndmask_b32_e64 v63, 0, 1, vcc_lo
	v_cmp_gt_i32_e32 vcc_lo, 1, v7
	v_lshl_or_b32 v16, v16, 9, 0x7c00
	v_or_b32_e32 v52, v52, v60
	v_cndmask_b32_e64 v20, 0, 1, s7
	v_cndmask_b32_e64 v60, 0, 1, s0
	v_or_b32_e32 v63, v66, v63
	v_cndmask_b32_e64 v66, 0, 1, s2
	v_cndmask_b32_e32 v52, v61, v52, vcc_lo
	v_or_b32_e32 v20, v56, v20
	v_cmp_gt_i32_e32 vcc_lo, 1, v41
	v_cndmask_b32_e64 v56, 0, 1, s1
	v_or_b32_e32 v60, v69, v60
	v_cndmask_b32_e64 v69, 0, 1, s3
	v_or_b32_e32 v62, v62, v66
	v_cndmask_b32_e32 v20, v64, v20, vcc_lo
	v_cmp_gt_i32_e32 vcc_lo, 1, v43
	v_or_b32_e32 v56, v70, v56
	v_cndmask_b32_e64 v70, 0, 1, s4
	v_or_b32_e32 v46, v46, v69
	v_lshl_or_b32 v66, v57, 12, v30
	v_cndmask_b32_e32 v61, v67, v63, vcc_lo
	v_cmp_gt_i32_e32 vcc_lo, 1, v45
	v_or_b32_e32 v68, v68, v70
	v_cndmask_b32_e64 v70, 0, 1, s5
	v_cmp_ne_u32_e64 s7, 0, v28
	v_lshl_or_b32 v18, v18, 9, 0x7c00
	v_cndmask_b32_e32 v60, v65, v60, vcc_lo
	v_cmp_gt_i32_e32 vcc_lo, 1, v47
	v_or_b32_e32 v50, v50, v70
	v_cndmask_b32_e64 v70, 0, 1, s6
	v_cndmask_b32_e64 v28, 0, 1, s7
	v_and_b32_e32 v63, 7, v60
	v_cndmask_b32_e32 v42, v42, v56, vcc_lo
	v_cmp_gt_i32_e32 vcc_lo, 1, v49
	v_or_b32_e32 v44, v44, v70
	v_and_b32_e32 v56, 7, v20
	v_lshrrev_b32_e32 v20, 2, v20
	v_and_b32_e32 v64, 7, v42
	v_cndmask_b32_e32 v54, v54, v62, vcc_lo
	v_cmp_gt_i32_e32 vcc_lo, 1, v51
	v_and_b32_e32 v62, 7, v61
	v_cmp_lt_i32_e64 s1, 5, v56
	v_cmp_eq_u32_e64 s2, 3, v56
	v_lshrrev_b32_e32 v61, 2, v61
	v_cndmask_b32_e32 v46, v48, v46, vcc_lo
	v_cmp_gt_i32_e32 vcc_lo, 1, v53
	v_cmp_lt_i32_e64 s3, 5, v62
	v_cmp_eq_u32_e64 s4, 3, v62
	v_cmp_lt_i32_e64 s5, 5, v63
	v_cmp_eq_u32_e64 s6, 3, v63
	v_cndmask_b32_e32 v48, v71, v68, vcc_lo
	v_cmp_gt_i32_e32 vcc_lo, 1, v55
	v_and_b32_e32 v65, 7, v54
	v_lshrrev_b32_e32 v60, 2, v60
	v_cmp_lt_i32_e64 s7, 5, v64
	v_cmp_eq_u32_e64 s8, 3, v64
	v_cndmask_b32_e32 v2, v2, v50, vcc_lo
	v_cmp_gt_i32_e32 vcc_lo, 1, v57
	v_and_b32_e32 v50, 7, v52
	v_lshrrev_b32_e32 v52, 2, v52
	v_lshrrev_b32_e32 v42, 2, v42
	v_cmp_lt_i32_e64 s9, 5, v65
	v_cndmask_b32_e32 v44, v66, v44, vcc_lo
	v_cmp_lt_i32_e32 vcc_lo, 5, v50
	v_cmp_eq_u32_e64 s0, 3, v50
	v_and_b32_e32 v66, 7, v46
	v_cmp_eq_u32_e64 s10, 3, v65
	v_and_b32_e32 v67, 7, v48
	v_lshrrev_b32_e32 v54, 2, v54
	s_or_b32 vcc_lo, s0, vcc_lo
	v_cmp_lt_i32_e64 s11, 5, v66
	v_add_co_ci_u32_e32 v50, vcc_lo, 0, v52, vcc_lo
	s_or_b32 vcc_lo, s2, s1
	v_cmp_eq_u32_e64 s12, 3, v66
	v_add_co_ci_u32_e32 v20, vcc_lo, 0, v20, vcc_lo
	s_or_b32 vcc_lo, s4, s3
	v_and_b32_e32 v68, 7, v2
	v_add_co_ci_u32_e32 v52, vcc_lo, 0, v61, vcc_lo
	s_or_b32 vcc_lo, s6, s5
	v_lshrrev_b32_e32 v46, 2, v46
	v_add_co_ci_u32_e32 v56, vcc_lo, 0, v60, vcc_lo
	s_or_b32 vcc_lo, s8, s7
	v_cmp_lt_i32_e64 s13, 5, v67
	v_add_co_ci_u32_e32 v42, vcc_lo, 0, v42, vcc_lo
	s_or_b32 vcc_lo, s10, s9
	v_cmp_eq_u32_e64 s14, 3, v67
	v_add_co_ci_u32_e32 v54, vcc_lo, 0, v54, vcc_lo
	v_lshrrev_b32_e32 v48, 2, v48
	s_or_b32 vcc_lo, s12, s11
	v_cmp_lt_i32_e64 s15, 5, v68
	v_cmp_eq_u32_e64 s16, 3, v68
	v_add_co_ci_u32_e32 v46, vcc_lo, 0, v46, vcc_lo
	v_lshrrev_b32_e32 v2, 2, v2
	s_or_b32 vcc_lo, s14, s13
	v_lshrrev_b32_e32 v3, 16, v3
	v_add_co_ci_u32_e32 v48, vcc_lo, 0, v48, vcc_lo
	s_or_b32 vcc_lo, s16, s15
	v_lshl_or_b32 v22, v22, 9, 0x7c00
	v_add_co_ci_u32_e32 v2, vcc_lo, 0, v2, vcc_lo
	v_cmp_gt_i32_e32 vcc_lo, 31, v7
	v_lshrrev_b32_e32 v13, 16, v13
	v_lshrrev_b32_e32 v15, 16, v15
	;; [unrolled: 1-line block ×3, first 2 shown]
	v_lshl_or_b32 v24, v24, 9, 0x7c00
	v_cndmask_b32_e32 v50, 0x7c00, v50, vcc_lo
	v_cmp_gt_i32_e32 vcc_lo, 31, v41
	v_lshrrev_b32_e32 v17, 16, v17
	v_lshrrev_b32_e32 v23, 16, v23
	v_lshl_or_b32 v26, v26, 9, 0x7c00
	v_and_b32_e32 v70, 7, v44
	v_cndmask_b32_e32 v20, 0x7c00, v20, vcc_lo
	v_cmp_gt_i32_e32 vcc_lo, 31, v43
	v_lshl_or_b32 v28, v28, 9, 0x7c00
	v_lshrrev_b32_e32 v44, 2, v44
	v_cmp_lt_i32_e64 s17, 5, v70
	v_cmp_eq_u32_e64 s18, 3, v70
	v_cndmask_b32_e32 v52, 0x7c00, v52, vcc_lo
	v_cmp_gt_i32_e32 vcc_lo, 31, v45
	v_or_b32_e32 v69, 0x1000, v32
	v_lshrrev_b32_e32 v25, 16, v25
	v_lshrrev_b32_e32 v27, 16, v27
	v_cndmask_b32_e32 v56, 0x7c00, v56, vcc_lo
	v_cmp_gt_i32_e32 vcc_lo, 31, v47
	v_cndmask_b32_e32 v42, 0x7c00, v42, vcc_lo
	v_cmp_gt_i32_e32 vcc_lo, 31, v49
	;; [unrolled: 2-line block ×5, first 2 shown]
	v_cndmask_b32_e32 v2, 0x7c00, v2, vcc_lo
	v_cmp_eq_u32_e32 vcc_lo, 0x40f, v7
	v_cndmask_b32_e32 v0, v50, v0, vcc_lo
	v_cmp_eq_u32_e32 vcc_lo, 0x40f, v41
	v_and_or_b32 v0, 0x8000, v3, v0
	v_cndmask_b32_e32 v7, v20, v12, vcc_lo
	v_cmp_eq_u32_e32 vcc_lo, 0x40f, v43
	v_and_b32_e32 v0, 0xffff, v0
	v_and_or_b32 v3, 0x8000, v13, v7
	v_cndmask_b32_e32 v12, v52, v14, vcc_lo
	v_cmp_eq_u32_e32 vcc_lo, 0x40f, v45
	v_lshl_or_b32 v0, v3, 16, v0
	v_and_or_b32 v7, 0x8000, v15, v12
	v_cndmask_b32_e32 v14, v56, v16, vcc_lo
	v_cmp_eq_u32_e32 vcc_lo, 0x40f, v47
	v_and_b32_e32 v7, 0xffff, v7
	v_and_or_b32 v12, 0x8000, v17, v14
	v_cndmask_b32_e32 v16, v42, v18, vcc_lo
	v_cmp_eq_u32_e32 vcc_lo, 0x40f, v49
	v_lshl_or_b32 v3, v12, 16, v7
	;; [unrolled: 8-line block ×3, first 2 shown]
	global_store_dword v[8:9], v0, off
	global_store_dword v[10:11], v3, off
	;; [unrolled: 1-line block ×3, first 2 shown]
	v_cndmask_b32_e32 v22, v48, v26, vcc_lo
	v_cmp_eq_u32_e32 vcc_lo, 0x40f, v55
	s_waitcnt vmcnt(2)
	v_mul_f16_sdwa v0, v40, v4 dst_sel:DWORD dst_unused:UNUSED_PAD src0_sel:DWORD src1_sel:WORD_1
	v_lshrrev_b32_e32 v9, v58, v69
	v_and_or_b32 v15, 0x8000, v25, v20
	v_and_or_b32 v16, 0x8000, v27, v22
	v_cndmask_b32_e32 v12, v2, v28, vcc_lo
	v_mul_f64 v[2:3], v[38:39], s[20:21]
	s_or_b32 vcc_lo, s18, s17
	v_fmac_f16_e32 v0, v1, v4
	v_add_co_ci_u32_e32 v7, vcc_lo, 0, v44, vcc_lo
	v_cmp_ne_u32_e32 vcc_lo, 0, v30
	v_lshlrev_b32_e32 v11, v58, v9
	v_cvt_f32_f16_e32 v0, v0
	v_and_b32_e32 v15, 0xffff, v15
	v_lshrrev_b32_e32 v10, 16, v29
	v_cndmask_b32_e64 v8, 0, 1, vcc_lo
	v_cmp_gt_i32_e32 vcc_lo, 31, v57
	v_lshl_or_b32 v13, v16, 16, v15
	v_lshrrev_b32_e32 v15, 16, v31
	v_lshl_or_b32 v8, v8, 9, 0x7c00
	v_cndmask_b32_e32 v7, 0x7c00, v7, vcc_lo
	v_cmp_eq_u32_e32 vcc_lo, 0x40f, v57
	v_add_nc_u32_e32 v16, 0xfffffc10, v59
	v_and_or_b32 v10, 0x8000, v10, v12
	global_store_dword v[36:37], v13, off
	v_mul_f16_sdwa v13, v1, v4 dst_sel:DWORD dst_unused:UNUSED_PAD src0_sel:DWORD src1_sel:WORD_1
	v_cndmask_b32_e32 v14, v7, v8, vcc_lo
	v_cvt_f64_f32_e32 v[7:8], v0
	v_cmp_ne_u32_e32 vcc_lo, v11, v69
	v_and_or_b32 v2, 0x1ff, v3, v2
	v_lshrrev_b32_e32 v12, 8, v3
	v_and_or_b32 v11, 0x8000, v15, v14
	v_bfe_u32 v14, v3, 20, 11
	v_cndmask_b32_e64 v0, 0, 1, vcc_lo
	v_cmp_ne_u32_e32 vcc_lo, 0, v2
	v_and_b32_e32 v10, 0xffff, v10
	v_fma_f16 v4, v4, v40, -v13
	v_or_b32_e32 v0, v9, v0
	v_lshl_or_b32 v9, v16, 12, v32
	v_cndmask_b32_e64 v2, 0, 1, vcc_lo
	v_cmp_gt_i32_e32 vcc_lo, 1, v16
	v_lshl_or_b32 v15, v11, 16, v10
	v_cvt_f32_f16_e32 v4, v4
	v_and_or_b32 v2, 0xffe, v12, v2
	v_cndmask_b32_e32 v9, v9, v0, vcc_lo
	v_sub_nc_u32_e32 v0, 0x3f1, v14
	v_mul_f64 v[7:8], v[7:8], s[20:21]
	v_or_b32_e32 v11, 0x1000, v2
	v_and_b32_e32 v10, 7, v9
	v_med3_i32 v12, v0, 0, 13
	v_add_co_u32 v0, vcc_lo, v36, s19
	v_add_co_ci_u32_e32 v1, vcc_lo, s22, v37, vcc_lo
	v_lshrrev_b32_e32 v17, v12, v11
	v_cmp_lt_i32_e32 vcc_lo, 5, v10
	v_cmp_eq_u32_e64 s0, 3, v10
	v_lshrrev_b32_e32 v9, 2, v9
	v_add_nc_u32_e32 v10, 0x400, v21
	v_lshlrev_b32_e32 v12, v12, v17
	s_or_b32 vcc_lo, s0, vcc_lo
	v_add_co_ci_u32_e32 v13, vcc_lo, 0, v9, vcc_lo
	v_cmp_ne_u32_e32 vcc_lo, v12, v11
	v_cvt_f64_f32_e32 v[11:12], v4
	v_add_nc_u32_e32 v4, 0xfffffc10, v14
	v_and_or_b32 v7, 0x1ff, v8, v7
	ds_read2_b32 v[9:10], v10 offset0:87 offset1:136
	v_cndmask_b32_e64 v18, 0, 1, vcc_lo
	v_cmp_gt_i32_e32 vcc_lo, 31, v16
	v_bfe_u32 v19, v8, 20, 11
	v_or_b32_e32 v14, v17, v18
	v_cndmask_b32_e32 v13, 0x7c00, v13, vcc_lo
	v_cmp_ne_u32_e32 vcc_lo, 0, v7
	v_lshl_or_b32 v17, v4, 12, v2
	v_lshrrev_b32_e32 v18, 8, v8
	v_cndmask_b32_e64 v7, 0, 1, vcc_lo
	v_cmp_ne_u32_e32 vcc_lo, 0, v32
	v_and_or_b32 v7, 0xffe, v18, v7
	v_cndmask_b32_e64 v20, 0, 1, vcc_lo
	v_cmp_gt_i32_e32 vcc_lo, 1, v4
	v_mul_f64 v[11:12], v[11:12], s[20:21]
	v_or_b32_e32 v22, 0x1000, v7
	v_lshl_or_b32 v18, v20, 9, 0x7c00
	v_cndmask_b32_e32 v14, v17, v14, vcc_lo
	v_sub_nc_u32_e32 v17, 0x3f1, v19
	v_cmp_eq_u32_e32 vcc_lo, 0x40f, v16
	v_lshrrev_b32_e32 v16, 16, v33
	s_waitcnt lgkmcnt(0)
	v_lshrrev_b32_e32 v20, 16, v9
	v_and_b32_e32 v21, 7, v14
	v_med3_i32 v17, v17, 0, 13
	v_cndmask_b32_e32 v13, v13, v18, vcc_lo
	v_add_nc_u32_e32 v19, 0xfffffc10, v19
	s_waitcnt vmcnt(1)
	v_mul_f16_sdwa v23, v20, v5 dst_sel:DWORD dst_unused:UNUSED_PAD src0_sel:DWORD src1_sel:WORD_1
	v_cmp_lt_i32_e32 vcc_lo, 5, v21
	v_lshrrev_b32_e32 v18, v17, v22
	v_cmp_eq_u32_e64 s0, 3, v21
	v_and_or_b32 v16, 0x8000, v16, v13
	v_lshrrev_b32_e32 v13, 2, v14
	v_fmac_f16_e32 v23, v9, v5
	v_lshlrev_b32_e32 v14, v17, v18
	s_or_b32 vcc_lo, s0, vcc_lo
	v_and_or_b32 v11, 0x1ff, v12, v11
	v_add_co_ci_u32_e32 v21, vcc_lo, 0, v13, vcc_lo
	v_cmp_ne_u32_e32 vcc_lo, v14, v22
	v_cvt_f32_f16_e32 v17, v23
	v_and_b32_e32 v16, 0xffff, v16
	v_mul_f16_sdwa v9, v9, v5 dst_sel:DWORD dst_unused:UNUSED_PAD src0_sel:DWORD src1_sel:WORD_1
	v_cndmask_b32_e64 v22, 0, 1, vcc_lo
	v_cmp_ne_u32_e32 vcc_lo, 0, v2
	v_cvt_f64_f32_e32 v[13:14], v17
	v_fma_f16 v5, v5, v20, -v9
	v_or_b32_e32 v17, v18, v22
	v_cndmask_b32_e64 v2, 0, 1, vcc_lo
	v_cmp_gt_i32_e32 vcc_lo, 31, v4
	v_lshl_or_b32 v18, v19, 12, v7
	v_bfe_u32 v22, v12, 20, 11
	v_lshl_or_b32 v2, v2, 9, 0x7c00
	v_cndmask_b32_e32 v21, 0x7c00, v21, vcc_lo
	v_cmp_gt_i32_e32 vcc_lo, 1, v19
	v_cndmask_b32_e32 v17, v18, v17, vcc_lo
	v_cmp_ne_u32_e32 vcc_lo, 0, v11
	v_lshrrev_b32_e32 v18, 8, v12
	v_and_b32_e32 v23, 7, v17
	v_cndmask_b32_e64 v11, 0, 1, vcc_lo
	v_cmp_eq_u32_e32 vcc_lo, 0x40f, v4
	v_lshrrev_b32_e32 v17, 2, v17
	v_cmp_eq_u32_e64 s0, 3, v23
	v_and_or_b32 v11, 0xffe, v18, v11
	v_sub_nc_u32_e32 v18, 0x3f1, v22
	v_cndmask_b32_e32 v4, v21, v2, vcc_lo
	v_cmp_lt_i32_e32 vcc_lo, 5, v23
	v_lshrrev_b32_e32 v21, 16, v3
	v_mul_f64 v[2:3], v[13:14], s[20:21]
	v_or_b32_e32 v13, 0x1000, v11
	v_med3_i32 v14, v18, 0, 13
	s_or_b32 vcc_lo, s0, vcc_lo
	v_and_or_b32 v4, 0x8000, v21, v4
	v_add_co_ci_u32_e32 v17, vcc_lo, 0, v17, vcc_lo
	v_lshrrev_b32_e32 v18, v14, v13
	v_cmp_ne_u32_e32 vcc_lo, 0, v7
	v_lshl_or_b32 v16, v4, 16, v16
	v_lshlrev_b32_e32 v4, v14, v18
	v_cndmask_b32_e64 v7, 0, 1, vcc_lo
	v_cmp_gt_i32_e32 vcc_lo, 31, v19
	v_lshl_or_b32 v7, v7, 9, 0x7c00
	v_cndmask_b32_e32 v14, 0x7c00, v17, vcc_lo
	v_cmp_ne_u32_e32 vcc_lo, v4, v13
	v_add_nc_u32_e32 v17, 0xfffffc10, v22
	v_and_or_b32 v2, 0x1ff, v3, v2
	v_cndmask_b32_e64 v4, 0, 1, vcc_lo
	v_cmp_eq_u32_e32 vcc_lo, 0x40f, v19
	v_lshl_or_b32 v13, v17, 12, v11
	v_lshrrev_b32_e32 v19, 16, v10
	v_cndmask_b32_e32 v9, v14, v7, vcc_lo
	v_cmp_ne_u32_e32 vcc_lo, 0, v2
	v_or_b32_e32 v7, v18, v4
	v_cvt_f32_f16_e32 v4, v5
	v_lshrrev_b32_e32 v14, 8, v3
	v_bfe_u32 v18, v3, 20, 11
	v_cndmask_b32_e64 v2, 0, 1, vcc_lo
	v_cmp_gt_i32_e32 vcc_lo, 1, v17
	v_cvt_f64_f32_e32 v[4:5], v4
	s_waitcnt vmcnt(0)
	v_mul_f16_sdwa v23, v19, v6 dst_sel:DWORD dst_unused:UNUSED_PAD src0_sel:DWORD src1_sel:WORD_1
	v_lshrrev_b32_e32 v3, 16, v3
	v_and_or_b32 v2, 0xffe, v14, v2
	v_cndmask_b32_e32 v13, v13, v7, vcc_lo
	v_sub_nc_u32_e32 v7, 0x3f1, v18
	v_lshrrev_b32_e32 v14, 16, v8
	v_fmac_f16_e32 v23, v10, v6
	v_or_b32_e32 v21, 0x1000, v2
	v_and_b32_e32 v20, 7, v13
	v_med3_i32 v22, v7, 0, 13
	v_add_co_u32 v7, vcc_lo, v0, s19
	v_and_or_b32 v24, 0x8000, v14, v9
	v_add_co_ci_u32_e32 v8, vcc_lo, s22, v1, vcc_lo
	v_lshrrev_b32_e32 v9, v22, v21
	v_cmp_lt_i32_e32 vcc_lo, 5, v20
	v_cmp_eq_u32_e64 s0, 3, v20
	v_lshrrev_b32_e32 v13, 2, v13
	v_cvt_f32_f16_e32 v14, v23
	v_lshlrev_b32_e32 v20, v22, v9
	v_mul_f64 v[4:5], v[4:5], s[20:21]
	s_or_b32 vcc_lo, s0, vcc_lo
	v_add_nc_u32_e32 v18, 0xfffffc10, v18
	v_add_co_ci_u32_e32 v22, vcc_lo, 0, v13, vcc_lo
	v_cmp_ne_u32_e32 vcc_lo, v20, v21
	v_cvt_f64_f32_e32 v[13:14], v14
	v_mul_f16_sdwa v10, v10, v6 dst_sel:DWORD dst_unused:UNUSED_PAD src0_sel:DWORD src1_sel:WORD_1
	v_cndmask_b32_e64 v20, 0, 1, vcc_lo
	v_cmp_ne_u32_e32 vcc_lo, 0, v11
	v_fma_f16 v6, v6, v19, -v10
	v_or_b32_e32 v9, v9, v20
	v_cndmask_b32_e64 v11, 0, 1, vcc_lo
	v_cmp_gt_i32_e32 vcc_lo, 31, v17
	v_lshl_or_b32 v20, v18, 12, v2
	v_cvt_f32_f16_e32 v6, v6
	v_lshl_or_b32 v11, v11, 9, 0x7c00
	v_cndmask_b32_e32 v10, 0x7c00, v22, vcc_lo
	v_cmp_gt_i32_e32 vcc_lo, 1, v18
	v_and_or_b32 v4, 0x1ff, v5, v4
	v_cndmask_b32_e32 v19, v20, v9, vcc_lo
	v_cmp_eq_u32_e32 vcc_lo, 0x40f, v17
	v_lshrrev_b32_e32 v20, 16, v12
	v_cndmask_b32_e32 v17, v10, v11, vcc_lo
	v_mul_f64 v[11:12], v[13:14], s[20:21]
	v_cvt_f64_f32_e32 v[9:10], v6
	v_cmp_ne_u32_e32 vcc_lo, 0, v4
	v_and_b32_e32 v6, 7, v19
	v_and_or_b32 v17, 0x8000, v20, v17
	v_and_b32_e32 v20, 0xffff, v24
	v_lshrrev_b32_e32 v13, 8, v5
	v_cndmask_b32_e64 v4, 0, 1, vcc_lo
	v_bfe_u32 v14, v5, 20, 11
	v_cmp_lt_i32_e32 vcc_lo, 5, v6
	v_cmp_eq_u32_e64 s0, 3, v6
	v_lshl_or_b32 v6, v17, 16, v20
	v_lshrrev_b32_e32 v17, 2, v19
	v_and_or_b32 v4, 0xffe, v13, v4
	v_sub_nc_u32_e32 v13, 0x3f1, v14
	s_or_b32 vcc_lo, s0, vcc_lo
	v_add_nc_u32_e32 v14, 0xfffffc10, v14
	v_add_co_ci_u32_e32 v17, vcc_lo, 0, v17, vcc_lo
	v_or_b32_e32 v19, 0x1000, v4
	v_med3_i32 v13, v13, 0, 13
	v_cmp_ne_u32_e32 vcc_lo, 0, v2
	v_and_or_b32 v11, 0x1ff, v12, v11
	v_mul_f64 v[9:10], v[9:10], s[20:21]
	v_lshrrev_b32_e32 v21, 8, v12
	v_lshrrev_b32_e32 v20, v13, v19
	v_cndmask_b32_e64 v2, 0, 1, vcc_lo
	v_cmp_gt_i32_e32 vcc_lo, 31, v18
	v_bfe_u32 v22, v12, 20, 11
	v_lshrrev_b32_e32 v5, 16, v5
	v_lshlrev_b32_e32 v13, v13, v20
	v_lshl_or_b32 v2, v2, 9, 0x7c00
	v_cndmask_b32_e32 v17, 0x7c00, v17, vcc_lo
	v_cmp_ne_u32_e32 vcc_lo, 0, v11
	v_lshrrev_b32_e32 v12, 16, v12
	v_cndmask_b32_e64 v11, 0, 1, vcc_lo
	v_cmp_ne_u32_e32 vcc_lo, v13, v19
	v_sub_nc_u32_e32 v19, 0x3f1, v22
	v_and_or_b32 v11, 0xffe, v21, v11
	v_cndmask_b32_e64 v13, 0, 1, vcc_lo
	v_cmp_eq_u32_e32 vcc_lo, 0x40f, v18
	v_med3_i32 v19, v19, 0, 13
	v_and_or_b32 v9, 0x1ff, v10, v9
	v_or_b32_e32 v18, 0x1000, v11
	v_or_b32_e32 v13, v20, v13
	v_cndmask_b32_e32 v2, v17, v2, vcc_lo
	v_lshl_or_b32 v17, v14, 12, v4
	v_cmp_gt_i32_e32 vcc_lo, 1, v14
	v_lshrrev_b32_e32 v20, 8, v10
	v_bfe_u32 v21, v10, 20, 11
	v_and_or_b32 v2, 0x8000, v3, v2
	v_lshrrev_b32_e32 v10, 16, v10
	v_cndmask_b32_e32 v13, v17, v13, vcc_lo
	v_lshrrev_b32_e32 v17, v19, v18
	v_cmp_ne_u32_e32 vcc_lo, 0, v9
	v_and_b32_e32 v23, 7, v13
	v_lshlrev_b32_e32 v19, v19, v17
	v_cndmask_b32_e64 v9, 0, 1, vcc_lo
	v_lshrrev_b32_e32 v13, 2, v13
	v_cmp_lt_i32_e32 vcc_lo, 5, v23
	v_cmp_ne_u32_e64 s0, v19, v18
	v_and_or_b32 v3, 0xffe, v20, v9
	v_sub_nc_u32_e32 v9, 0x3f1, v21
	v_add_nc_u32_e32 v20, 0xfffffc10, v22
	v_cndmask_b32_e64 v18, 0, 1, s0
	v_cmp_eq_u32_e64 s0, 3, v23
	v_or_b32_e32 v19, 0x1000, v3
	v_med3_i32 v9, v9, 0, 13
	v_lshl_or_b32 v22, v20, 12, v11
	v_or_b32_e32 v17, v17, v18
	s_or_b32 vcc_lo, s0, vcc_lo
	v_add_co_ci_u32_e32 v13, vcc_lo, 0, v13, vcc_lo
	v_lshrrev_b32_e32 v18, v9, v19
	v_cmp_gt_i32_e32 vcc_lo, 1, v20
	v_lshlrev_b32_e32 v9, v9, v18
	v_cndmask_b32_e32 v17, v22, v17, vcc_lo
	v_cmp_ne_u32_e32 vcc_lo, 0, v4
	v_cndmask_b32_e64 v4, 0, 1, vcc_lo
	v_cmp_ne_u32_e32 vcc_lo, v9, v19
	v_add_nc_u32_e32 v19, 0xfffffc10, v21
	v_and_b32_e32 v21, 7, v17
	v_lshl_or_b32 v4, v4, 9, 0x7c00
	v_cndmask_b32_e64 v9, 0, 1, vcc_lo
	v_cmp_gt_i32_e32 vcc_lo, 31, v14
	v_cmp_gt_i32_e64 s1, 1, v19
	v_cmp_eq_u32_e64 s0, 3, v21
	v_or_b32_e32 v9, v18, v9
	v_lshl_or_b32 v18, v19, 12, v3
	v_cndmask_b32_e32 v13, 0x7c00, v13, vcc_lo
	v_cmp_lt_i32_e32 vcc_lo, 5, v21
	v_cndmask_b32_e64 v9, v18, v9, s1
	v_cmp_eq_u32_e64 s1, 0x40f, v14
	s_or_b32 vcc_lo, s0, vcc_lo
	v_and_b32_e32 v14, 7, v9
	v_cndmask_b32_e64 v4, v13, v4, s1
	v_lshrrev_b32_e32 v13, 2, v17
	v_lshrrev_b32_e32 v9, 2, v9
	v_cmp_gt_i32_e64 s1, 31, v20
	v_cmp_eq_u32_e64 s0, 3, v14
	v_and_or_b32 v4, 0x8000, v5, v4
	v_add_co_ci_u32_e32 v13, vcc_lo, 0, v13, vcc_lo
	v_cmp_ne_u32_e32 vcc_lo, 0, v11
	v_and_b32_e32 v5, 0xffff, v2
	v_cndmask_b32_e64 v13, 0x7c00, v13, s1
	v_cndmask_b32_e64 v11, 0, 1, vcc_lo
	v_cmp_lt_i32_e32 vcc_lo, 5, v14
	v_lshl_or_b32 v11, v11, 9, 0x7c00
	s_or_b32 vcc_lo, s0, vcc_lo
	v_add_co_ci_u32_e32 v9, vcc_lo, 0, v9, vcc_lo
	v_cmp_ne_u32_e32 vcc_lo, 0, v3
	v_cndmask_b32_e64 v3, 0, 1, vcc_lo
	v_cmp_eq_u32_e32 vcc_lo, 0x40f, v20
	v_lshl_or_b32 v3, v3, 9, 0x7c00
	v_cndmask_b32_e32 v11, v13, v11, vcc_lo
	v_cmp_gt_i32_e32 vcc_lo, 31, v19
	v_and_or_b32 v11, 0x8000, v12, v11
	v_cndmask_b32_e32 v9, 0x7c00, v9, vcc_lo
	v_cmp_eq_u32_e32 vcc_lo, 0x40f, v19
	v_lshl_or_b32 v12, v4, 16, v5
	v_cndmask_b32_e32 v9, v9, v3, vcc_lo
	v_add_co_u32 v2, vcc_lo, v7, s19
	v_add_co_ci_u32_e32 v3, vcc_lo, s22, v8, vcc_lo
	v_and_or_b32 v9, 0x8000, v10, v9
	v_and_b32_e32 v10, 0xffff, v11
	v_add_co_u32 v4, vcc_lo, v2, s19
	v_add_co_ci_u32_e32 v5, vcc_lo, s22, v3, vcc_lo
	v_lshl_or_b32 v11, v9, 16, v10
	v_add_co_u32 v9, vcc_lo, v4, s19
	v_add_co_ci_u32_e32 v10, vcc_lo, s22, v5, vcc_lo
	global_store_dword v[0:1], v15, off
	global_store_dword v[7:8], v16, off
	;; [unrolled: 1-line block ×5, first 2 shown]
.LBB0_15:
	s_endpgm
	.section	.rodata,"a",@progbits
	.p2align	6, 0x0
	.amdhsa_kernel bluestein_single_fwd_len441_dim1_half_op_CI_CI
		.amdhsa_group_segment_fixed_size 1764
		.amdhsa_private_segment_fixed_size 0
		.amdhsa_kernarg_size 104
		.amdhsa_user_sgpr_count 6
		.amdhsa_user_sgpr_private_segment_buffer 1
		.amdhsa_user_sgpr_dispatch_ptr 0
		.amdhsa_user_sgpr_queue_ptr 0
		.amdhsa_user_sgpr_kernarg_segment_ptr 1
		.amdhsa_user_sgpr_dispatch_id 0
		.amdhsa_user_sgpr_flat_scratch_init 0
		.amdhsa_user_sgpr_private_segment_size 0
		.amdhsa_wavefront_size32 1
		.amdhsa_uses_dynamic_stack 0
		.amdhsa_system_sgpr_private_segment_wavefront_offset 0
		.amdhsa_system_sgpr_workgroup_id_x 1
		.amdhsa_system_sgpr_workgroup_id_y 0
		.amdhsa_system_sgpr_workgroup_id_z 0
		.amdhsa_system_sgpr_workgroup_info 0
		.amdhsa_system_vgpr_workitem_id 0
		.amdhsa_next_free_vgpr 72
		.amdhsa_next_free_sgpr 23
		.amdhsa_reserve_vcc 1
		.amdhsa_reserve_flat_scratch 0
		.amdhsa_float_round_mode_32 0
		.amdhsa_float_round_mode_16_64 0
		.amdhsa_float_denorm_mode_32 3
		.amdhsa_float_denorm_mode_16_64 3
		.amdhsa_dx10_clamp 1
		.amdhsa_ieee_mode 1
		.amdhsa_fp16_overflow 0
		.amdhsa_workgroup_processor_mode 1
		.amdhsa_memory_ordered 1
		.amdhsa_forward_progress 0
		.amdhsa_shared_vgpr_count 0
		.amdhsa_exception_fp_ieee_invalid_op 0
		.amdhsa_exception_fp_denorm_src 0
		.amdhsa_exception_fp_ieee_div_zero 0
		.amdhsa_exception_fp_ieee_overflow 0
		.amdhsa_exception_fp_ieee_underflow 0
		.amdhsa_exception_fp_ieee_inexact 0
		.amdhsa_exception_int_div_zero 0
	.end_amdhsa_kernel
	.text
.Lfunc_end0:
	.size	bluestein_single_fwd_len441_dim1_half_op_CI_CI, .Lfunc_end0-bluestein_single_fwd_len441_dim1_half_op_CI_CI
                                        ; -- End function
	.section	.AMDGPU.csdata,"",@progbits
; Kernel info:
; codeLenInByte = 12100
; NumSgprs: 25
; NumVgprs: 72
; ScratchSize: 0
; MemoryBound: 0
; FloatMode: 240
; IeeeMode: 1
; LDSByteSize: 1764 bytes/workgroup (compile time only)
; SGPRBlocks: 3
; VGPRBlocks: 8
; NumSGPRsForWavesPerEU: 25
; NumVGPRsForWavesPerEU: 72
; Occupancy: 12
; WaveLimiterHint : 1
; COMPUTE_PGM_RSRC2:SCRATCH_EN: 0
; COMPUTE_PGM_RSRC2:USER_SGPR: 6
; COMPUTE_PGM_RSRC2:TRAP_HANDLER: 0
; COMPUTE_PGM_RSRC2:TGID_X_EN: 1
; COMPUTE_PGM_RSRC2:TGID_Y_EN: 0
; COMPUTE_PGM_RSRC2:TGID_Z_EN: 0
; COMPUTE_PGM_RSRC2:TIDIG_COMP_CNT: 0
	.text
	.p2alignl 6, 3214868480
	.fill 48, 4, 3214868480
	.type	__hip_cuid_bffc72a1025502fe,@object ; @__hip_cuid_bffc72a1025502fe
	.section	.bss,"aw",@nobits
	.globl	__hip_cuid_bffc72a1025502fe
__hip_cuid_bffc72a1025502fe:
	.byte	0                               ; 0x0
	.size	__hip_cuid_bffc72a1025502fe, 1

	.ident	"AMD clang version 19.0.0git (https://github.com/RadeonOpenCompute/llvm-project roc-6.4.0 25133 c7fe45cf4b819c5991fe208aaa96edf142730f1d)"
	.section	".note.GNU-stack","",@progbits
	.addrsig
	.addrsig_sym __hip_cuid_bffc72a1025502fe
	.amdgpu_metadata
---
amdhsa.kernels:
  - .args:
      - .actual_access:  read_only
        .address_space:  global
        .offset:         0
        .size:           8
        .value_kind:     global_buffer
      - .actual_access:  read_only
        .address_space:  global
        .offset:         8
        .size:           8
        .value_kind:     global_buffer
      - .actual_access:  read_only
        .address_space:  global
        .offset:         16
        .size:           8
        .value_kind:     global_buffer
      - .actual_access:  read_only
        .address_space:  global
        .offset:         24
        .size:           8
        .value_kind:     global_buffer
      - .actual_access:  read_only
        .address_space:  global
        .offset:         32
        .size:           8
        .value_kind:     global_buffer
      - .offset:         40
        .size:           8
        .value_kind:     by_value
      - .address_space:  global
        .offset:         48
        .size:           8
        .value_kind:     global_buffer
      - .address_space:  global
        .offset:         56
        .size:           8
        .value_kind:     global_buffer
      - .address_space:  global
        .offset:         64
        .size:           8
        .value_kind:     global_buffer
      - .address_space:  global
        .offset:         72
        .size:           8
        .value_kind:     global_buffer
      - .offset:         80
        .size:           4
        .value_kind:     by_value
      - .address_space:  global
        .offset:         88
        .size:           8
        .value_kind:     global_buffer
      - .address_space:  global
        .offset:         96
        .size:           8
        .value_kind:     global_buffer
    .group_segment_fixed_size: 1764
    .kernarg_segment_align: 8
    .kernarg_segment_size: 104
    .language:       OpenCL C
    .language_version:
      - 2
      - 0
    .max_flat_workgroup_size: 63
    .name:           bluestein_single_fwd_len441_dim1_half_op_CI_CI
    .private_segment_fixed_size: 0
    .sgpr_count:     25
    .sgpr_spill_count: 0
    .symbol:         bluestein_single_fwd_len441_dim1_half_op_CI_CI.kd
    .uniform_work_group_size: 1
    .uses_dynamic_stack: false
    .vgpr_count:     72
    .vgpr_spill_count: 0
    .wavefront_size: 32
    .workgroup_processor_mode: 1
amdhsa.target:   amdgcn-amd-amdhsa--gfx1030
amdhsa.version:
  - 1
  - 2
...

	.end_amdgpu_metadata
